;; amdgpu-corpus repo=ROCm/rocFFT kind=compiled arch=gfx906 opt=O3
	.text
	.amdgcn_target "amdgcn-amd-amdhsa--gfx906"
	.amdhsa_code_object_version 6
	.protected	bluestein_single_fwd_len1496_dim1_sp_op_CI_CI ; -- Begin function bluestein_single_fwd_len1496_dim1_sp_op_CI_CI
	.globl	bluestein_single_fwd_len1496_dim1_sp_op_CI_CI
	.p2align	8
	.type	bluestein_single_fwd_len1496_dim1_sp_op_CI_CI,@function
bluestein_single_fwd_len1496_dim1_sp_op_CI_CI: ; @bluestein_single_fwd_len1496_dim1_sp_op_CI_CI
; %bb.0:
	s_load_dwordx4 s[0:3], s[4:5], 0x28
	v_mul_u32_u24_e32 v1, 0x15f, v0
	v_add_u32_sdwa v68, s6, v1 dst_sel:DWORD dst_unused:UNUSED_PAD src0_sel:DWORD src1_sel:WORD_1
	v_mov_b32_e32 v69, 0
	s_waitcnt lgkmcnt(0)
	v_cmp_gt_u64_e32 vcc, s[0:1], v[68:69]
	s_and_saveexec_b64 s[0:1], vcc
	s_cbranch_execz .LBB0_23
; %bb.1:
	s_load_dwordx2 s[12:13], s[4:5], 0x0
	s_load_dwordx2 s[14:15], s[4:5], 0x38
	s_movk_i32 s0, 0xbb
	v_mul_lo_u16_sdwa v1, v1, s0 dst_sel:DWORD dst_unused:UNUSED_PAD src0_sel:WORD_1 src1_sel:DWORD
	v_sub_u16_e32 v83, v0, v1
	s_movk_i32 s0, 0x58
	v_cmp_gt_u16_e32 vcc, s0, v83
	v_lshlrev_b32_e32 v84, 3, v83
	s_and_saveexec_b64 s[6:7], vcc
	s_cbranch_execz .LBB0_3
; %bb.2:
	s_load_dwordx2 s[0:1], s[4:5], 0x18
	s_waitcnt lgkmcnt(0)
	v_mov_b32_e32 v20, s13
	v_or_b32_e32 v66, 0x580, v83
	v_lshlrev_b32_e32 v26, 3, v66
	s_load_dwordx4 s[8:11], s[0:1], 0x0
	s_waitcnt lgkmcnt(0)
	v_mad_u64_u32 v[0:1], s[0:1], s10, v68, 0
	v_mad_u64_u32 v[2:3], s[0:1], s8, v83, 0
	s_movk_i32 s10, 0x1000
	v_mad_u64_u32 v[4:5], s[0:1], s11, v68, v[1:2]
	v_mad_u64_u32 v[5:6], s[0:1], s9, v83, v[3:4]
	v_mov_b32_e32 v1, v4
	v_lshlrev_b64 v[0:1], 3, v[0:1]
	v_mov_b32_e32 v3, v5
	v_mov_b32_e32 v6, s3
	v_lshlrev_b64 v[2:3], 3, v[2:3]
	v_add_co_u32_e64 v75, s[0:1], s2, v0
	v_addc_co_u32_e64 v76, s[0:1], v6, v1, s[0:1]
	v_add_co_u32_e64 v0, s[0:1], v75, v2
	v_addc_co_u32_e64 v1, s[0:1], v76, v3, s[0:1]
	s_mul_i32 s0, s9, 0x2c0
	s_mul_hi_u32 s3, s8, 0x2c0
	s_add_i32 s3, s3, s0
	s_mul_i32 s2, s8, 0x2c0
	v_mov_b32_e32 v3, s3
	v_add_co_u32_e64 v2, s[0:1], s2, v0
	v_addc_co_u32_e64 v3, s[0:1], v1, v3, s[0:1]
	v_mov_b32_e32 v5, s3
	v_add_co_u32_e64 v4, s[0:1], s2, v2
	v_addc_co_u32_e64 v5, s[0:1], v3, v5, s[0:1]
	;; [unrolled: 3-line block ×3, first 2 shown]
	v_add_co_u32_e64 v54, s[0:1], s12, v84
	v_addc_co_u32_e64 v55, s[0:1], 0, v20, s[0:1]
	v_add_co_u32_e64 v20, s[0:1], s10, v54
	v_addc_co_u32_e64 v21, s[0:1], 0, v55, s[0:1]
	global_load_dwordx2 v[6:7], v84, s[12:13] offset:704
	global_load_dwordx2 v[8:9], v84, s[12:13] offset:1408
	global_load_dwordx2 v[12:13], v[0:1], off
	global_load_dwordx2 v[14:15], v[2:3], off
	global_load_dwordx2 v[16:17], v[4:5], off
	global_load_dwordx2 v[18:19], v[10:11], off
	s_nop 0
	global_load_dwordx2 v[0:1], v84, s[12:13] offset:2112
	global_load_dwordx2 v[2:3], v84, s[12:13] offset:2816
	;; [unrolled: 1-line block ×3, first 2 shown]
	global_load_dwordx2 v[22:23], v84, s[12:13]
	global_load_dwordx2 v[24:25], v26, s[12:13]
	v_mov_b32_e32 v26, s3
	v_add_co_u32_e64 v10, s[0:1], s2, v10
	v_addc_co_u32_e64 v11, s[0:1], v11, v26, s[0:1]
	v_mov_b32_e32 v28, s3
	global_load_dwordx2 v[26:27], v[10:11], off
	v_add_co_u32_e64 v10, s[0:1], s2, v10
	v_addc_co_u32_e64 v11, s[0:1], v11, v28, s[0:1]
	v_mov_b32_e32 v30, s3
	global_load_dwordx2 v[28:29], v[10:11], off
	;; [unrolled: 4-line block ×3, first 2 shown]
	v_add_co_u32_e64 v10, s[0:1], s2, v10
	v_addc_co_u32_e64 v11, s[0:1], v11, v32, s[0:1]
	global_load_dwordx2 v[32:33], v[10:11], off
	v_mov_b32_e32 v34, s3
	v_add_co_u32_e64 v10, s[0:1], s2, v10
	v_addc_co_u32_e64 v11, s[0:1], v11, v34, s[0:1]
	global_load_dwordx2 v[34:35], v[10:11], off
	v_mov_b32_e32 v36, s3
	v_add_co_u32_e64 v10, s[0:1], s2, v10
	v_addc_co_u32_e64 v11, s[0:1], v11, v36, s[0:1]
	global_load_dwordx2 v[36:37], v[10:11], off
	global_load_dwordx2 v[38:39], v[20:21], off offset:128
	global_load_dwordx2 v[40:41], v[20:21], off offset:832
	;; [unrolled: 1-line block ×4, first 2 shown]
	v_mov_b32_e32 v46, s3
	v_add_co_u32_e64 v10, s[0:1], s2, v10
	v_addc_co_u32_e64 v11, s[0:1], v11, v46, s[0:1]
	global_load_dwordx2 v[46:47], v[10:11], off
	v_mov_b32_e32 v48, s3
	v_add_co_u32_e64 v10, s[0:1], s2, v10
	v_addc_co_u32_e64 v11, s[0:1], v11, v48, s[0:1]
	global_load_dwordx2 v[48:49], v[10:11], off
	global_load_dwordx2 v[50:51], v[20:21], off offset:2944
	global_load_dwordx2 v[52:53], v[20:21], off offset:3648
	v_mov_b32_e32 v20, s3
	v_add_co_u32_e64 v10, s[0:1], s2, v10
	v_addc_co_u32_e64 v11, s[0:1], v11, v20, s[0:1]
	s_movk_i32 s0, 0x2000
	v_add_co_u32_e64 v54, s[0:1], s0, v54
	v_addc_co_u32_e64 v55, s[0:1], 0, v55, s[0:1]
	global_load_dwordx2 v[20:21], v[10:11], off
	v_mov_b32_e32 v56, s3
	v_add_co_u32_e64 v10, s[0:1], s2, v10
	v_addc_co_u32_e64 v11, s[0:1], v11, v56, s[0:1]
	global_load_dwordx2 v[56:57], v[10:11], off
	v_mov_b32_e32 v58, s3
	v_add_co_u32_e64 v10, s[0:1], s2, v10
	v_addc_co_u32_e64 v11, s[0:1], v11, v58, s[0:1]
	global_load_dwordx2 v[60:61], v[54:55], off offset:256
	global_load_dwordx2 v[62:63], v[10:11], off
	v_mad_u64_u32 v[58:59], s[0:1], s8, v66, 0
	v_mov_b32_e32 v71, s3
	global_load_dwordx2 v[64:65], v[54:55], off offset:960
	global_load_dwordx2 v[69:70], v[54:55], off offset:1664
	s_waitcnt vmcnt(3)
	v_mad_u64_u32 v[66:67], s[0:1], s9, v66, v[59:60]
	v_add_co_u32_e64 v10, s[0:1], s2, v10
	v_addc_co_u32_e64 v11, s[0:1], v11, v71, s[0:1]
	v_mov_b32_e32 v59, v66
	global_load_dwordx2 v[71:72], v[10:11], off
	global_load_dwordx2 v[73:74], v[54:55], off offset:2368
	v_lshlrev_b64 v[10:11], 3, v[58:59]
	v_mul_f32_e32 v54, v13, v23
	v_add_co_u32_e64 v10, s[0:1], v75, v10
	v_addc_co_u32_e64 v11, s[0:1], v76, v11, s[0:1]
	global_load_dwordx2 v[10:11], v[10:11], off
	v_mul_f32_e32 v23, v12, v23
	v_fmac_f32_e32 v54, v12, v22
	v_mul_f32_e32 v12, v15, v7
	v_mul_f32_e32 v7, v14, v7
	v_fma_f32 v55, v13, v22, -v23
	v_fmac_f32_e32 v12, v14, v6
	v_fma_f32 v13, v15, v6, -v7
	v_mul_f32_e32 v6, v17, v9
	v_mul_f32_e32 v7, v16, v9
	v_fmac_f32_e32 v6, v16, v8
	v_fma_f32 v7, v17, v8, -v7
	v_mul_f32_e32 v8, v19, v1
	v_mul_f32_e32 v1, v18, v1
	;; [unrolled: 4-line block ×4, first 2 shown]
	v_fmac_f32_e32 v2, v28, v4
	v_fma_f32 v3, v29, v4, -v3
	v_add_u32_e32 v4, 0x800, v84
	ds_write2_b64 v84, v[54:55], v[12:13] offset1:88
	ds_write2_b64 v4, v[0:1], v[2:3] offset0:96 offset1:184
	v_mul_f32_e32 v0, v31, v39
	v_mul_f32_e32 v1, v30, v39
	v_mul_f32_e32 v2, v33, v41
	v_mul_f32_e32 v3, v32, v41
	v_fmac_f32_e32 v0, v30, v38
	v_fma_f32 v1, v31, v38, -v1
	v_fmac_f32_e32 v2, v32, v40
	v_fma_f32 v3, v33, v40, -v3
	v_add_u32_e32 v4, 0x1000, v84
	ds_write2_b64 v4, v[0:1], v[2:3] offset0:16 offset1:104
	v_mul_f32_e32 v0, v35, v43
	v_mul_f32_e32 v1, v34, v43
	v_mul_f32_e32 v2, v37, v45
	v_mul_f32_e32 v3, v36, v45
	v_fmac_f32_e32 v0, v34, v42
	v_fma_f32 v1, v35, v42, -v1
	v_fmac_f32_e32 v2, v36, v44
	v_fma_f32 v3, v37, v44, -v3
	v_add_u32_e32 v4, 0x1400, v84
	;; [unrolled: 10-line block ×3, first 2 shown]
	ds_write2_b64 v4, v[0:1], v[2:3] offset0:112 offset1:200
	v_mul_f32_e32 v0, v21, v61
	v_mul_f32_e32 v1, v20, v61
	s_waitcnt vmcnt(4)
	v_mul_f32_e32 v2, v57, v65
	v_mul_f32_e32 v3, v56, v65
	v_fmac_f32_e32 v0, v20, v60
	v_fma_f32 v1, v21, v60, -v1
	v_fmac_f32_e32 v2, v56, v64
	v_fma_f32 v3, v57, v64, -v3
	v_add_u32_e32 v4, 0x2000, v84
	ds_write2_b64 v4, v[0:1], v[2:3] offset0:32 offset1:120
	s_waitcnt vmcnt(3)
	v_mul_f32_e32 v0, v63, v70
	v_mul_f32_e32 v1, v62, v70
	v_fmac_f32_e32 v0, v62, v69
	v_fma_f32 v1, v63, v69, -v1
	v_add_u32_e32 v4, 0x2400, v84
	v_add_u32_e32 v58, 0x400, v84
	s_waitcnt vmcnt(1)
	v_mul_f32_e32 v2, v72, v74
	v_mul_f32_e32 v3, v71, v74
	v_fmac_f32_e32 v2, v71, v73
	v_fma_f32 v3, v72, v73, -v3
	ds_write2_b64 v4, v[0:1], v[2:3] offset0:80 offset1:168
	ds_write2_b64 v58, v[6:7], v[8:9] offset0:48 offset1:136
	s_waitcnt vmcnt(0)
	v_mul_f32_e32 v0, v11, v25
	v_mul_f32_e32 v1, v10, v25
	v_fmac_f32_e32 v0, v10, v24
	v_fma_f32 v1, v11, v24, -v1
	ds_write_b64 v84, v[0:1] offset:11264
.LBB0_3:
	s_or_b64 exec, exec, s[6:7]
	s_load_dwordx2 s[0:1], s[4:5], 0x20
	s_load_dwordx2 s[2:3], s[4:5], 0x8
	v_mov_b32_e32 v12, 0
	v_mov_b32_e32 v13, 0
	s_waitcnt lgkmcnt(0)
	s_barrier
	s_waitcnt lgkmcnt(0)
                                        ; implicit-def: $vgpr18
                                        ; implicit-def: $vgpr24
                                        ; implicit-def: $vgpr36
                                        ; implicit-def: $vgpr40
                                        ; implicit-def: $vgpr8
                                        ; implicit-def: $vgpr34
                                        ; implicit-def: $vgpr30
                                        ; implicit-def: $vgpr22
	s_and_saveexec_b64 s[4:5], vcc
	s_cbranch_execz .LBB0_5
; %bb.4:
	v_add_u32_e32 v0, 0x400, v84
	ds_read2_b64 v[20:23], v0 offset0:48 offset1:136
	v_add_u32_e32 v0, 0x800, v84
	ds_read2_b64 v[28:31], v0 offset0:96 offset1:184
	;; [unrolled: 2-line block ×6, first 2 shown]
	v_add_u32_e32 v0, 0x2400, v84
	ds_read2_b64 v[12:15], v84 offset1:88
	ds_read2_b64 v[40:43], v0 offset0:80 offset1:168
	ds_read_b64 v[8:9], v84 offset:11264
.LBB0_5:
	s_or_b64 exec, exec, s[4:5]
	s_waitcnt lgkmcnt(0)
	v_sub_f32_e32 v45, v15, v9
	v_mul_f32_e32 v48, 0xbeb8f4ab, v45
	v_sub_f32_e32 v47, v21, v43
	v_add_f32_e32 v59, v8, v14
	v_sub_f32_e32 v44, v14, v8
	v_mov_b32_e32 v0, v48
	v_mul_f32_e32 v50, 0xbf2c7751, v47
	v_add_f32_e32 v60, v9, v15
	s_mov_b32 s4, 0x3f6eb680
	v_mul_f32_e32 v49, 0xbeb8f4ab, v44
	v_fmac_f32_e32 v0, 0x3f6eb680, v59
	v_add_f32_e32 v63, v42, v20
	v_sub_f32_e32 v46, v20, v42
	v_mov_b32_e32 v2, v50
	v_add_f32_e32 v0, v0, v12
	v_fma_f32 v1, v60, s4, -v49
	s_mov_b32 s5, 0x3f3d2fb0
	v_add_f32_e32 v66, v43, v21
	v_mul_f32_e32 v51, 0xbf2c7751, v46
	v_fmac_f32_e32 v2, 0x3f3d2fb0, v63
	v_sub_f32_e32 v99, v23, v41
	v_add_f32_e32 v1, v1, v13
	v_add_f32_e32 v0, v2, v0
	v_fma_f32 v2, v66, s5, -v51
	v_mul_f32_e32 v52, 0xbf65296c, v99
	v_add_f32_e32 v1, v2, v1
	v_add_f32_e32 v71, v40, v22
	v_sub_f32_e32 v85, v22, v40
	v_mov_b32_e32 v2, v52
	s_mov_b32 s6, 0x3ee437d1
	v_add_f32_e32 v72, v41, v23
	v_mul_f32_e32 v53, 0xbf65296c, v85
	v_fmac_f32_e32 v2, 0x3ee437d1, v71
	v_sub_f32_e32 v111, v29, v39
	v_add_f32_e32 v0, v2, v0
	v_fma_f32 v2, v72, s6, -v53
	v_mul_f32_e32 v54, 0xbf7ee86f, v111
	v_add_f32_e32 v1, v2, v1
	v_add_f32_e32 v75, v38, v28
	v_mov_b32_e32 v2, v54
	v_sub_f32_e32 v112, v28, v38
	s_mov_b32 s7, 0x3dbcf732
	v_add_f32_e32 v76, v39, v29
	v_fmac_f32_e32 v2, 0x3dbcf732, v75
	v_mul_f32_e32 v55, 0xbf7ee86f, v112
	v_sub_f32_e32 v123, v31, v37
	v_add_f32_e32 v0, v2, v0
	v_fma_f32 v2, v76, s7, -v55
	v_mul_f32_e32 v56, 0xbf763a35, v123
	v_add_f32_e32 v1, v2, v1
	v_add_f32_e32 v90, v36, v30
	v_mov_b32_e32 v2, v56
	v_sub_f32_e32 v126, v30, v36
	v_fmac_f32_e32 v2, 0xbe8c1d8e, v90
	s_mov_b32 s8, 0xbe8c1d8e
	v_add_f32_e32 v94, v37, v31
	v_mul_f32_e32 v57, 0xbf763a35, v126
	v_sub_f32_e32 v141, v33, v27
	v_add_f32_e32 v0, v2, v0
	v_fma_f32 v2, v94, s8, -v57
	v_mul_f32_e32 v58, 0xbf4c4adb, v141
	v_add_f32_e32 v1, v2, v1
	v_add_f32_e32 v97, v26, v32
	v_mov_b32_e32 v2, v58
	v_sub_f32_e32 v142, v32, v26
	v_fmac_f32_e32 v2, 0xbf1a4643, v97
	s_mov_b32 s9, 0xbf1a4643
	v_add_f32_e32 v100, v27, v33
	;; [unrolled: 12-line block ×3, first 2 shown]
	v_mul_f32_e32 v67, 0xbf06c442, v192
	v_sub_f32_e32 v193, v17, v19
	v_add_f32_e32 v0, v2, v0
	v_fma_f32 v2, v108, s10, -v67
	v_mul_f32_e32 v73, 0xbe3c28d5, v193
	v_add_f32_e32 v1, v2, v1
	v_add_f32_e32 v113, v18, v16
	v_mov_b32_e32 v2, v73
	v_sub_f32_e32 v194, v16, v18
	s_mov_b32 s11, 0xbf7ba420
	v_fmac_f32_e32 v2, 0xbf7ba420, v113
	v_add_f32_e32 v120, v19, v17
	v_mul_f32_e32 v74, 0xbe3c28d5, v194
	v_add_f32_e32 v69, v2, v0
	v_fma_f32 v0, v120, s11, -v74
	v_mul_f32_e32 v77, 0xbf2c7751, v45
	v_add_f32_e32 v70, v0, v1
	v_mov_b32_e32 v0, v77
	v_mul_f32_e32 v78, 0xbf7ee86f, v47
	v_fmac_f32_e32 v0, 0x3f3d2fb0, v59
	v_mov_b32_e32 v1, v78
	v_add_f32_e32 v0, v0, v12
	v_fmac_f32_e32 v1, 0x3dbcf732, v63
	v_mul_f32_e32 v82, 0xbf2c7751, v44
	v_add_f32_e32 v0, v1, v0
	v_fma_f32 v1, v60, s5, -v82
	v_mul_f32_e32 v86, 0xbf7ee86f, v46
	v_add_f32_e32 v1, v1, v13
	v_fma_f32 v2, v66, s7, -v86
	v_mul_f32_e32 v79, 0xbf4c4adb, v99
	v_add_f32_e32 v1, v2, v1
	v_mov_b32_e32 v2, v79
	v_fmac_f32_e32 v2, 0xbf1a4643, v71
	v_mul_f32_e32 v88, 0xbf4c4adb, v85
	v_add_f32_e32 v0, v2, v0
	v_fma_f32 v2, v72, s9, -v88
	v_mul_f32_e32 v80, 0xbe3c28d5, v111
	v_add_f32_e32 v1, v2, v1
	v_mov_b32_e32 v2, v80
	v_fmac_f32_e32 v2, 0xbf7ba420, v75
	;; [unrolled: 7-line block ×6, first 2 shown]
	v_mul_f32_e32 v98, 0x3eb8f4ab, v194
	v_mul_f32_e32 v102, 0xbf65296c, v45
	v_fma_f32 v3, v120, s4, -v98
	v_add_f32_e32 v2, v2, v0
	v_mov_b32_e32 v0, v102
	v_mul_f32_e32 v103, 0xbf4c4adb, v47
	v_add_f32_e32 v3, v3, v1
	v_fmac_f32_e32 v0, 0x3ee437d1, v59
	v_mov_b32_e32 v1, v103
	v_add_f32_e32 v0, v0, v12
	v_fmac_f32_e32 v1, 0xbf1a4643, v63
	v_mul_f32_e32 v104, 0x3e3c28d5, v99
	v_add_f32_e32 v0, v1, v0
	v_mov_b32_e32 v1, v104
	v_fmac_f32_e32 v1, 0xbf7ba420, v71
	v_mul_f32_e32 v105, 0x3f763a35, v111
	v_add_f32_e32 v0, v1, v0
	v_mov_b32_e32 v1, v105
	;; [unrolled: 4-line block ×6, first 2 shown]
	v_fmac_f32_e32 v1, 0xbf59a7d5, v113
	v_mul_f32_e32 v114, 0xbf65296c, v44
	v_add_f32_e32 v0, v1, v0
	v_fma_f32 v1, v60, s6, -v114
	v_mul_f32_e32 v115, 0xbf4c4adb, v46
	v_add_f32_e32 v1, v1, v13
	v_fma_f32 v4, v66, s9, -v115
	;; [unrolled: 3-line block ×8, first 2 shown]
	v_mul_f32_e32 v124, 0xbf7ee86f, v45
	v_add_f32_e32 v1, v4, v1
	v_mov_b32_e32 v4, v124
	v_mul_f32_e32 v125, 0xbe3c28d5, v47
	v_fmac_f32_e32 v4, 0x3dbcf732, v59
	v_mov_b32_e32 v5, v125
	v_add_f32_e32 v4, v4, v12
	v_fmac_f32_e32 v5, 0xbf7ba420, v63
	v_mul_f32_e32 v130, 0xbf7ee86f, v44
	v_add_f32_e32 v4, v5, v4
	v_fma_f32 v5, v60, s7, -v130
	v_mul_f32_e32 v131, 0xbe3c28d5, v46
	v_add_f32_e32 v5, v5, v13
	v_fma_f32 v6, v66, s11, -v131
	v_mul_f32_e32 v127, 0x3f763a35, v99
	v_add_f32_e32 v5, v6, v5
	v_mov_b32_e32 v6, v127
	v_fmac_f32_e32 v6, 0xbe8c1d8e, v71
	v_mul_f32_e32 v133, 0x3f763a35, v85
	v_add_f32_e32 v4, v6, v4
	v_fma_f32 v6, v72, s8, -v133
	v_mul_f32_e32 v128, 0x3eb8f4ab, v111
	v_add_f32_e32 v5, v6, v5
	v_mov_b32_e32 v6, v128
	v_fmac_f32_e32 v6, 0x3f6eb680, v75
	;; [unrolled: 7-line block ×6, first 2 shown]
	v_mul_f32_e32 v140, 0x3f2c7751, v194
	v_mul_f32_e32 v143, 0xbf763a35, v45
	v_fma_f32 v7, v120, s5, -v140
	v_add_f32_e32 v6, v6, v4
	v_mov_b32_e32 v4, v143
	v_mul_f32_e32 v144, 0x3f06c442, v47
	v_add_f32_e32 v7, v7, v5
	v_fmac_f32_e32 v4, 0xbe8c1d8e, v59
	v_mov_b32_e32 v5, v144
	v_add_f32_e32 v4, v4, v12
	v_fmac_f32_e32 v5, 0xbf59a7d5, v63
	v_mul_f32_e32 v145, 0x3f2c7751, v99
	v_add_f32_e32 v4, v5, v4
	v_mov_b32_e32 v5, v145
	v_fmac_f32_e32 v5, 0x3f3d2fb0, v71
	v_mul_f32_e32 v146, 0xbf65296c, v111
	v_add_f32_e32 v4, v5, v4
	v_mov_b32_e32 v5, v146
	;; [unrolled: 4-line block ×6, first 2 shown]
	v_fmac_f32_e32 v5, 0xbf1a4643, v113
	v_mul_f32_e32 v151, 0xbf763a35, v44
	v_add_f32_e32 v4, v5, v4
	v_fma_f32 v5, v60, s8, -v151
	v_mul_f32_e32 v152, 0x3f06c442, v46
	v_add_f32_e32 v5, v5, v13
	v_fma_f32 v10, v66, s10, -v152
	;; [unrolled: 3-line block ×8, first 2 shown]
	v_mul_f32_e32 v159, 0xbf4c4adb, v45
	v_add_f32_e32 v5, v10, v5
	v_mov_b32_e32 v10, v159
	v_mul_f32_e32 v160, 0x3f763a35, v47
	v_fmac_f32_e32 v10, 0xbf1a4643, v59
	v_mov_b32_e32 v11, v160
	v_add_f32_e32 v10, v10, v12
	v_fmac_f32_e32 v11, 0xbe8c1d8e, v63
	v_mul_f32_e32 v164, 0xbf4c4adb, v44
	v_add_f32_e32 v10, v11, v10
	v_fma_f32 v11, v60, s9, -v164
	v_mul_f32_e32 v165, 0x3f763a35, v46
	v_add_f32_e32 v11, v11, v13
	v_fma_f32 v64, v66, s8, -v165
	v_mul_f32_e32 v161, 0xbeb8f4ab, v99
	v_add_f32_e32 v11, v64, v11
	v_mov_b32_e32 v64, v161
	v_fmac_f32_e32 v64, 0x3f6eb680, v71
	v_mul_f32_e32 v167, 0xbeb8f4ab, v85
	v_add_f32_e32 v10, v64, v10
	v_fma_f32 v64, v72, s4, -v167
	v_mul_f32_e32 v162, 0xbf06c442, v111
	v_add_f32_e32 v11, v64, v11
	v_mov_b32_e32 v64, v162
	v_fmac_f32_e32 v64, 0xbf59a7d5, v75
	;; [unrolled: 7-line block ×6, first 2 shown]
	v_mul_f32_e32 v174, 0x3f65296c, v194
	v_mul_f32_e32 v175, 0xbf06c442, v45
	v_fma_f32 v65, v120, s6, -v174
	v_add_f32_e32 v10, v64, v10
	v_mov_b32_e32 v64, v175
	v_mul_f32_e32 v176, 0x3f65296c, v47
	v_add_f32_e32 v11, v65, v11
	v_fmac_f32_e32 v64, 0xbf59a7d5, v59
	v_mov_b32_e32 v65, v176
	v_add_f32_e32 v64, v64, v12
	v_fmac_f32_e32 v65, 0x3ee437d1, v63
	v_mul_f32_e32 v183, 0xbf06c442, v44
	v_add_f32_e32 v64, v65, v64
	v_fma_f32 v65, v60, s10, -v183
	v_mul_f32_e32 v184, 0x3f65296c, v46
	v_add_f32_e32 v65, v65, v13
	v_fma_f32 v177, v66, s6, -v184
	v_add_f32_e32 v65, v177, v65
	v_mul_f32_e32 v177, 0xbf7ee86f, v99
	v_mov_b32_e32 v178, v177
	v_fmac_f32_e32 v178, 0x3dbcf732, v71
	v_mul_f32_e32 v185, 0xbf7ee86f, v85
	v_add_f32_e32 v64, v178, v64
	v_fma_f32 v178, v72, s7, -v185
	v_add_f32_e32 v65, v178, v65
	v_mul_f32_e32 v178, 0x3f4c4adb, v111
	v_mov_b32_e32 v179, v178
	v_fmac_f32_e32 v179, 0xbf1a4643, v75
	;; [unrolled: 7-line block ×6, first 2 shown]
	v_add_f32_e32 v64, v190, v64
	v_mul_f32_e32 v190, 0xbf763a35, v194
	v_fma_f32 v195, v120, s8, -v190
	v_add_f32_e32 v65, v195, v65
	v_mul_f32_e32 v195, 0xbe3c28d5, v45
	v_fma_f32 v45, v59, s11, -v195
	v_mul_f32_e32 v47, 0x3eb8f4ab, v47
	v_add_f32_e32 v45, v45, v12
	v_fma_f32 v196, v63, s4, -v47
	v_add_f32_e32 v45, v196, v45
	v_mul_f32_e32 v196, 0xbe3c28d5, v44
	v_mov_b32_e32 v44, v196
	v_mul_f32_e32 v197, 0x3eb8f4ab, v46
	v_fmac_f32_e32 v44, 0xbf7ba420, v60
	v_mov_b32_e32 v46, v197
	v_add_f32_e32 v44, v44, v13
	v_fmac_f32_e32 v46, 0x3f6eb680, v66
	v_add_f32_e32 v44, v46, v44
	v_mul_f32_e32 v46, 0xbf06c442, v99
	v_fma_f32 v99, v71, s10, -v46
	v_mul_f32_e32 v85, 0xbf06c442, v85
	v_add_f32_e32 v45, v99, v45
	v_mov_b32_e32 v99, v85
	v_fmac_f32_e32 v99, 0xbf59a7d5, v72
	v_add_f32_e32 v44, v99, v44
	v_mul_f32_e32 v99, 0x3f2c7751, v111
	v_fma_f32 v111, v75, s5, -v99
	v_add_f32_e32 v45, v111, v45
	v_mul_f32_e32 v111, 0x3f2c7751, v112
	v_mov_b32_e32 v112, v111
	v_fmac_f32_e32 v112, 0x3f3d2fb0, v76
	v_add_f32_e32 v44, v112, v44
	v_mul_f32_e32 v112, 0xbf4c4adb, v123
	v_fma_f32 v123, v90, s9, -v112
	v_add_f32_e32 v45, v123, v45
	v_mul_f32_e32 v123, 0xbf4c4adb, v126
	;; [unrolled: 7-line block ×4, first 2 shown]
	v_mov_b32_e32 v192, v191
	v_mul_f32_e32 v194, 0x3f7ee86f, v194
	v_fmac_f32_e32 v192, 0xbe8c1d8e, v108
	v_mul_f32_e32 v193, 0x3f7ee86f, v193
	v_mov_b32_e32 v198, v194
	v_add_f32_e32 v192, v192, v44
	v_fmac_f32_e32 v198, 0x3dbcf732, v120
	v_fma_f32 v44, v113, s7, -v193
	v_fmac_f32_e32 v195, 0xbf7ba420, v59
	v_add_f32_e32 v44, v44, v45
	v_add_f32_e32 v45, v198, v192
	;; [unrolled: 1-line block ×3, first 2 shown]
	v_fmac_f32_e32 v47, 0x3f6eb680, v63
	v_add_f32_e32 v47, v47, v192
	v_fmac_f32_e32 v46, 0xbf59a7d5, v71
	v_add_f32_e32 v46, v46, v47
	v_fmac_f32_e32 v99, 0x3f3d2fb0, v75
	v_fma_f32 v47, v60, s11, -v196
	v_add_f32_e32 v46, v99, v46
	v_add_f32_e32 v47, v47, v13
	v_fma_f32 v99, v66, s4, -v197
	v_add_f32_e32 v47, v99, v47
	v_fma_f32 v85, v72, s10, -v85
	;; [unrolled: 2-line block ×3, first 2 shown]
	v_fmac_f32_e32 v112, 0xbf1a4643, v90
	v_add_f32_e32 v47, v85, v47
	v_fma_f32 v85, v94, s9, -v123
	v_add_f32_e32 v46, v112, v46
	v_fmac_f32_e32 v126, 0x3ee437d1, v97
	v_add_f32_e32 v47, v85, v47
	v_fma_f32 v85, v100, s6, -v141
	v_add_f32_e32 v46, v126, v46
	;; [unrolled: 4-line block ×4, first 2 shown]
	v_add_f32_e32 v47, v85, v47
	v_mul_lo_u16_e32 v85, 17, v83
	s_barrier
	s_and_saveexec_b64 s[4:5], vcc
	s_cbranch_execz .LBB0_7
; %bb.6:
	v_mul_f32_e32 v112, 0x3f6eb680, v60
	v_mul_f32_e32 v126, 0x3f3d2fb0, v60
	;; [unrolled: 1-line block ×14, first 2 shown]
	v_add_f32_e32 v60, v183, v60
	v_mul_f32_e32 v111, 0x3f6eb680, v59
	v_mul_f32_e32 v123, 0x3f3d2fb0, v59
	;; [unrolled: 1-line block ×14, first 2 shown]
	v_add_f32_e32 v66, v184, v66
	v_add_f32_e32 v60, v60, v13
	v_mul_f32_e32 v196, 0x3f3d2fb0, v63
	v_mul_f32_e32 v198, 0x3dbcf732, v63
	;; [unrolled: 1-line block ×14, first 2 shown]
	v_add_f32_e32 v60, v66, v60
	v_add_f32_e32 v72, v185, v72
	v_sub_f32_e32 v59, v59, v175
	v_mul_f32_e32 v208, 0x3ee437d1, v71
	v_mul_f32_e32 v210, 0xbf1a4643, v71
	;; [unrolled: 1-line block ×14, first 2 shown]
	v_add_f32_e32 v60, v72, v60
	v_add_f32_e32 v72, v186, v76
	v_sub_f32_e32 v63, v63, v176
	v_add_f32_e32 v59, v59, v12
	v_mul_f32_e32 v220, 0x3dbcf732, v75
	v_mul_f32_e32 v222, 0xbf7ba420, v75
	;; [unrolled: 1-line block ×14, first 2 shown]
	v_add_f32_e32 v60, v72, v60
	v_add_f32_e32 v72, v187, v94
	;; [unrolled: 1-line block ×3, first 2 shown]
	v_sub_f32_e32 v71, v71, v177
	v_mul_f32_e32 v232, 0xbe8c1d8e, v90
	v_mul_f32_e32 v234, 0xbf59a7d5, v90
	;; [unrolled: 1-line block ×7, first 2 shown]
	v_add_f32_e32 v60, v72, v60
	v_add_f32_e32 v72, v188, v100
	;; [unrolled: 1-line block ×3, first 2 shown]
	v_sub_f32_e32 v71, v75, v178
	v_mul_f32_e32 v244, 0xbf1a4643, v97
	v_mul_f32_e32 v246, 0xbe8c1d8e, v97
	;; [unrolled: 1-line block ×7, first 2 shown]
	v_add_f32_e32 v60, v72, v60
	v_mul_f32_e32 v72, 0x3f3d2fb0, v108
	v_add_f32_e32 v59, v71, v59
	v_sub_f32_e32 v71, v90, v179
	v_mul_f32_e32 v185, 0xbf59a7d5, v101
	v_mul_f32_e32 v186, 0x3ee437d1, v101
	;; [unrolled: 1-line block ×4, first 2 shown]
	v_add_f32_e32 v72, v189, v72
	v_mul_f32_e32 v189, 0x3f6eb680, v101
	v_mul_f32_e32 v175, 0xbf7ba420, v101
	v_mul_f32_e32 v101, 0x3f3d2fb0, v101
	v_add_f32_e32 v59, v71, v59
	v_sub_f32_e32 v71, v97, v180
	v_add_f32_e32 v60, v72, v60
	v_mul_f32_e32 v72, 0xbe8c1d8e, v120
	v_add_f32_e32 v59, v71, v59
	v_sub_f32_e32 v71, v101, v181
	v_add_f32_e32 v72, v190, v72
	v_mul_f32_e32 v63, 0xbf7ba420, v113
	v_mul_f32_e32 v177, 0x3f6eb680, v113
	;; [unrolled: 1-line block ×5, first 2 shown]
	v_add_f32_e32 v59, v71, v59
	v_mul_f32_e32 v71, 0x3ee437d1, v113
	v_mul_f32_e32 v113, 0xbe8c1d8e, v113
	v_add_f32_e32 v60, v72, v60
	v_sub_f32_e32 v72, v113, v182
	v_add_f32_e32 v59, v72, v59
	v_add_f32_e32 v72, v164, v195
	;; [unrolled: 1-line block ×10, first 2 shown]
	v_mul_f32_e32 v253, 0xbf59a7d5, v108
	v_mul_f32_e32 v254, 0x3ee437d1, v108
	;; [unrolled: 1-line block ×6, first 2 shown]
	v_add_f32_e32 v72, v113, v72
	v_add_f32_e32 v66, v172, v66
	v_mul_f32_e32 v176, 0xbf7ba420, v120
	v_mul_f32_e32 v178, 0x3f6eb680, v120
	;; [unrolled: 1-line block ×6, first 2 shown]
	v_add_f32_e32 v66, v66, v72
	v_add_f32_e32 v72, v173, v108
	v_add_f32_e32 v66, v72, v66
	v_add_f32_e32 v72, v174, v120
	v_add_f32_e32 v72, v72, v66
	v_sub_f32_e32 v66, v194, v159
	v_add_f32_e32 v66, v66, v12
	v_sub_f32_e32 v108, v206, v160
	v_add_f32_e32 v66, v108, v66
	v_sub_f32_e32 v108, v218, v161
	v_add_f32_e32 v66, v108, v66
	v_sub_f32_e32 v108, v230, v162
	v_add_f32_e32 v66, v108, v66
	v_sub_f32_e32 v108, v242, v163
	v_add_f32_e32 v66, v108, v66
	v_sub_f32_e32 v108, v184, v166
	v_add_f32_e32 v66, v108, v66
	v_sub_f32_e32 v108, v175, v168
	v_add_f32_e32 v66, v108, v66
	v_sub_f32_e32 v71, v71, v170
	v_add_f32_e32 v71, v71, v66
	v_add_f32_e32 v66, v151, v193
	v_add_f32_e32 v66, v66, v13
	v_add_f32_e32 v108, v152, v205
	v_add_f32_e32 v66, v108, v66
	v_add_f32_e32 v108, v153, v217
	v_add_f32_e32 v66, v108, v66
	v_add_f32_e32 v108, v154, v229
	v_add_f32_e32 v66, v108, v66
	v_add_f32_e32 v108, v155, v241
	v_add_f32_e32 v66, v108, v66
	v_add_f32_e32 v108, v156, v183
	v_add_f32_e32 v66, v108, v66
	v_add_f32_e32 v76, v157, v76
	v_add_f32_e32 v66, v76, v66
	v_add_f32_e32 v76, v158, v101
	v_add_f32_e32 v76, v76, v66
	v_sub_f32_e32 v66, v192, v143
	v_add_f32_e32 v66, v66, v12
	v_sub_f32_e32 v101, v204, v144
	v_add_f32_e32 v66, v101, v66
	v_sub_f32_e32 v101, v216, v145
	v_add_f32_e32 v66, v101, v66
	v_sub_f32_e32 v101, v228, v146
	v_add_f32_e32 v66, v101, v66
	v_sub_f32_e32 v101, v240, v147
	v_add_f32_e32 v66, v101, v66
	v_sub_f32_e32 v101, v252, v148
	v_add_f32_e32 v66, v101, v66
	v_sub_f32_e32 v101, v189, v149
	v_add_f32_e32 v66, v101, v66
	v_sub_f32_e32 v75, v75, v150
	v_add_f32_e32 v75, v75, v66
	v_add_f32_e32 v66, v130, v191
	v_add_f32_e32 v66, v66, v13
	v_add_f32_e32 v101, v131, v203
	v_add_f32_e32 v66, v101, v66
	v_add_f32_e32 v101, v133, v215
	v_add_f32_e32 v66, v101, v66
	v_add_f32_e32 v101, v135, v227
	v_add_f32_e32 v66, v101, v66
	v_add_f32_e32 v101, v137, v239
	v_add_f32_e32 v66, v101, v66
	v_add_f32_e32 v101, v138, v251
	;; [unrolled: 32-line block ×4, first 2 shown]
	v_add_f32_e32 v66, v82, v66
	v_add_f32_e32 v82, v96, v254
	;; [unrolled: 1-line block ×5, first 2 shown]
	v_sub_f32_e32 v66, v123, v77
	v_add_f32_e32 v49, v49, v112
	v_sub_f32_e32 v48, v111, v48
	v_add_f32_e32 v66, v66, v12
	v_add_f32_e32 v49, v49, v13
	;; [unrolled: 1-line block ×20, first 2 shown]
	v_sub_f32_e32 v50, v196, v50
	v_add_f32_e32 v13, v19, v13
	v_add_f32_e32 v12, v18, v12
	v_sub_f32_e32 v77, v198, v78
	v_add_f32_e32 v49, v51, v49
	v_add_f32_e32 v51, v53, v209
	v_add_f32_e32 v48, v50, v48
	v_sub_f32_e32 v50, v208, v52
	v_add_f32_e32 v13, v25, v13
	;; [unrolled: 4-line block ×13, first 2 shown]
	v_add_f32_e32 v48, v50, v48
	v_add_f32_e32 v9, v9, v13
	;; [unrolled: 1-line block ×3, first 2 shown]
	v_lshlrev_b32_e32 v12, 3, v85
	v_add_f32_e32 v81, v77, v66
	ds_write2_b64 v12, v[8:9], v[48:49] offset1:1
	ds_write2_b64 v12, v[81:82], v[107:108] offset0:2 offset1:3
	ds_write2_b64 v12, v[99:100], v[75:76] offset0:4 offset1:5
	;; [unrolled: 1-line block ×7, first 2 shown]
	ds_write_b64 v12, v[69:70] offset:128
.LBB0_7:
	s_or_b64 exec, exec, s[4:5]
	s_load_dwordx4 s[4:7], s[0:1], 0x0
	s_movk_i32 s0, 0xf1
	v_mul_lo_u16_sdwa v8, v83, s0 dst_sel:DWORD dst_unused:UNUSED_PAD src0_sel:BYTE_0 src1_sel:DWORD
	v_lshrrev_b16_e32 v40, 12, v8
	v_mul_lo_u16_e32 v8, 17, v40
	v_sub_u16_e32 v8, v83, v8
	v_and_b32_e32 v41, 0xff, v8
	v_mad_u64_u32 v[8:9], s[0:1], v41, 56, s[2:3]
	s_waitcnt lgkmcnt(0)
	s_barrier
	global_load_dwordx4 v[24:27], v[8:9], off
	global_load_dwordx4 v[16:19], v[8:9], off offset:16
	global_load_dwordx4 v[12:15], v[8:9], off offset:32
	global_load_dwordx2 v[71:72], v[8:9], off offset:48
	v_add_u32_e32 v8, 0xa00, v84
	v_add_u32_e32 v36, 0x2200, v84
	ds_read2_b64 v[20:23], v84 offset1:187
	v_add_u32_e32 v9, 0x1600, v84
	ds_read2_b64 v[28:31], v8 offset0:54 offset1:241
	ds_read2_b64 v[32:35], v9 offset0:44 offset1:231
	;; [unrolled: 1-line block ×3, first 2 shown]
	s_movk_i32 s0, 0x88
	v_cmp_gt_u16_e64 s[0:1], s0, v83
	s_waitcnt vmcnt(0) lgkmcnt(0)
	s_barrier
	v_mul_f32_e32 v8, v23, v25
	v_mul_f32_e32 v9, v22, v25
	;; [unrolled: 1-line block ×14, first 2 shown]
	v_fma_f32 v8, v22, v24, -v8
	v_fmac_f32_e32 v9, v23, v24
	v_fma_f32 v22, v28, v26, -v42
	v_fmac_f32_e32 v43, v29, v26
	v_fma_f32 v23, v30, v16, -v48
	v_fma_f32 v28, v32, v18, -v50
	v_fmac_f32_e32 v51, v33, v18
	v_fma_f32 v30, v36, v14, -v54
	v_fmac_f32_e32 v55, v37, v14
	v_fmac_f32_e32 v49, v31, v16
	v_fma_f32 v29, v34, v12, -v52
	v_fmac_f32_e32 v53, v35, v12
	v_fma_f32 v31, v38, v71, -v56
	v_fmac_f32_e32 v57, v39, v71
	v_sub_f32_e32 v28, v20, v28
	v_sub_f32_e32 v32, v21, v51
	;; [unrolled: 1-line block ×8, first 2 shown]
	v_fma_f32 v22, v22, 2.0, -v30
	v_fma_f32 v36, v43, 2.0, -v33
	v_sub_f32_e32 v33, v28, v33
	v_add_f32_e32 v30, v32, v30
	v_fma_f32 v20, v20, 2.0, -v28
	v_fma_f32 v21, v21, 2.0, -v32
	;; [unrolled: 1-line block ×6, first 2 shown]
	v_sub_f32_e32 v35, v29, v35
	v_add_f32_e32 v31, v34, v31
	v_fma_f32 v28, v28, 2.0, -v33
	v_fma_f32 v32, v32, 2.0, -v30
	v_sub_f32_e32 v22, v20, v22
	v_sub_f32_e32 v36, v21, v36
	;; [unrolled: 1-line block ×4, first 2 shown]
	v_fma_f32 v29, v29, 2.0, -v35
	v_fma_f32 v34, v34, 2.0, -v31
	v_mov_b32_e32 v54, v28
	v_mov_b32_e32 v55, v32
	;; [unrolled: 1-line block ×4, first 2 shown]
	v_fma_f32 v20, v20, 2.0, -v22
	v_fma_f32 v21, v21, 2.0, -v36
	;; [unrolled: 1-line block ×4, first 2 shown]
	v_fmac_f32_e32 v54, 0xbf3504f3, v29
	v_fmac_f32_e32 v55, 0xbf3504f3, v34
	;; [unrolled: 1-line block ×4, first 2 shown]
	v_sub_f32_e32 v60, v22, v37
	v_add_f32_e32 v61, v36, v23
	v_sub_f32_e32 v52, v20, v8
	v_sub_f32_e32 v53, v21, v9
	v_fmac_f32_e32 v54, 0xbf3504f3, v34
	v_fmac_f32_e32 v55, 0x3f3504f3, v29
	;; [unrolled: 1-line block ×4, first 2 shown]
	v_mul_u32_u24_e32 v8, 0x88, v40
	v_fma_f32 v56, v22, 2.0, -v60
	v_fma_f32 v57, v36, 2.0, -v61
	;; [unrolled: 1-line block ×8, first 2 shown]
	v_add_lshl_u32 v86, v8, v41, 3
	ds_write2_b64 v86, v[48:49], v[50:51] offset1:17
	ds_write2_b64 v86, v[56:57], v[58:59] offset0:34 offset1:51
	ds_write2_b64 v86, v[52:53], v[54:55] offset0:68 offset1:85
	;; [unrolled: 1-line block ×3, first 2 shown]
	s_waitcnt lgkmcnt(0)
	s_barrier
	s_and_saveexec_b64 s[8:9], s[0:1]
	s_cbranch_execz .LBB0_9
; %bb.8:
	v_add_u32_e32 v8, 0x800, v84
	ds_read2_b64 v[56:59], v8 offset0:16 offset1:152
	v_add_u32_e32 v8, 0x1000, v84
	ds_read2_b64 v[52:55], v8 offset0:32 offset1:168
	;; [unrolled: 2-line block ×3, first 2 shown]
	v_add_u32_e32 v8, 0x2000, v84
	ds_read2_b64 v[48:51], v84 offset1:136
	ds_read2_b64 v[44:47], v8 offset0:64 offset1:200
	ds_read_b64 v[64:65], v84 offset:10880
.LBB0_9:
	s_or_b64 exec, exec, s[8:9]
	v_add_u32_e32 v8, 0xffffff78, v83
	v_cndmask_b32_e64 v8, v8, v83, s[0:1]
	v_mul_hi_i32_i24_e32 v9, 0x50, v8
	v_mul_i32_i24_e32 v8, 0x50, v8
	v_mov_b32_e32 v20, s3
	v_add_co_u32_e64 v8, s[2:3], s2, v8
	v_addc_co_u32_e64 v9, s[2:3], v20, v9, s[2:3]
	global_load_dwordx4 v[36:39], v[8:9], off offset:952
	global_load_dwordx4 v[28:31], v[8:9], off offset:968
	;; [unrolled: 1-line block ×5, first 2 shown]
	s_mov_b32 s3, 0x3f575c64
	s_mov_b32 s2, 0x3ed4b147
	;; [unrolled: 1-line block ×5, first 2 shown]
	s_waitcnt vmcnt(4) lgkmcnt(2)
	v_mul_f32_e32 v8, v51, v37
	v_mul_f32_e32 v9, v50, v37
	;; [unrolled: 1-line block ×4, first 2 shown]
	s_waitcnt vmcnt(1) lgkmcnt(1)
	v_mul_f32_e32 v88, v44, v35
	s_waitcnt vmcnt(0)
	v_mul_f32_e32 v90, v46, v41
	v_fma_f32 v8, v50, v36, -v8
	v_fmac_f32_e32 v9, v51, v36
	v_mul_f32_e32 v73, v59, v29
	v_mul_f32_e32 v74, v58, v29
	;; [unrolled: 1-line block ×4, first 2 shown]
	v_fma_f32 v50, v56, v38, -v66
	v_fmac_f32_e32 v67, v57, v38
	v_fmac_f32_e32 v88, v45, v34
	;; [unrolled: 1-line block ×3, first 2 shown]
	v_add_f32_e32 v45, v48, v8
	v_add_f32_e32 v47, v49, v9
	v_mul_f32_e32 v75, v53, v31
	v_mul_f32_e32 v76, v52, v31
	v_fma_f32 v51, v58, v28, -v73
	v_fmac_f32_e32 v74, v59, v28
	v_add_f32_e32 v45, v45, v50
	v_add_f32_e32 v47, v47, v67
	v_mul_f32_e32 v77, v55, v21
	v_mul_f32_e32 v78, v54, v21
	v_fma_f32 v52, v52, v30, -v75
	v_fmac_f32_e32 v76, v53, v30
	v_add_f32_e32 v45, v45, v51
	v_add_f32_e32 v47, v47, v74
	v_mul_f32_e32 v79, v61, v23
	v_mul_f32_e32 v80, v60, v23
	s_waitcnt lgkmcnt(0)
	v_mul_f32_e32 v91, v65, v43
	v_fma_f32 v53, v54, v20, -v77
	v_fmac_f32_e32 v78, v55, v20
	v_add_f32_e32 v45, v45, v52
	v_add_f32_e32 v47, v47, v76
	v_mul_f32_e32 v81, v63, v33
	v_mul_f32_e32 v82, v62, v33
	v_fma_f32 v54, v60, v22, -v79
	v_fmac_f32_e32 v80, v61, v22
	v_fma_f32 v56, v44, v34, -v87
	v_fma_f32 v44, v64, v42, -v91
	v_add_f32_e32 v45, v45, v53
	v_add_f32_e32 v47, v47, v78
	v_mul_f32_e32 v92, v64, v43
	v_fma_f32 v55, v62, v32, -v81
	v_fmac_f32_e32 v82, v63, v32
	v_add_f32_e32 v57, v8, v44
	v_sub_f32_e32 v8, v8, v44
	v_add_f32_e32 v45, v45, v54
	v_add_f32_e32 v47, v47, v80
	v_fmac_f32_e32 v92, v65, v42
	v_mul_f32_e32 v62, 0xbf68dda4, v8
	v_add_f32_e32 v45, v45, v55
	v_add_f32_e32 v47, v47, v82
	v_fma_f32 v46, v46, v40, -v89
	v_add_f32_e32 v58, v9, v92
	v_mov_b32_e32 v66, v62
	v_add_f32_e32 v45, v45, v56
	v_add_f32_e32 v47, v47, v88
	v_sub_f32_e32 v9, v9, v92
	v_add_f32_e32 v45, v45, v46
	v_add_f32_e32 v47, v47, v90
	v_fmac_f32_e32 v66, 0x3ed4b147, v58
	v_mul_f32_e32 v59, 0xbf0a6770, v9
	v_mul_f32_e32 v61, 0xbf68dda4, v9
	v_add_f32_e32 v44, v45, v44
	v_add_f32_e32 v45, v47, v92
	v_add_f32_e32 v47, v49, v66
	v_mul_f32_e32 v66, 0xbf7d64f0, v9
	v_mul_f32_e32 v79, 0xbf4178ce, v9
	v_mul_f32_e32 v9, 0xbe903f40, v9
	v_fma_f32 v63, v57, s3, -v59
	v_fmac_f32_e32 v59, 0x3f575c64, v57
	v_fma_f32 v65, v57, s2, -v61
	v_fmac_f32_e32 v61, 0x3ed4b147, v57
	;; [unrolled: 2-line block ×5, first 2 shown]
	v_mul_f32_e32 v60, 0xbf0a6770, v8
	v_add_f32_e32 v63, v48, v63
	v_add_f32_e32 v59, v48, v59
	;; [unrolled: 1-line block ×5, first 2 shown]
	v_mul_f32_e32 v75, 0xbf7d64f0, v8
	v_add_f32_e32 v66, v48, v66
	v_add_f32_e32 v81, v48, v81
	v_mul_f32_e32 v87, 0xbf4178ce, v8
	v_add_f32_e32 v79, v48, v79
	v_add_f32_e32 v91, v48, v91
	;; [unrolled: 3-line block ×3, first 2 shown]
	v_sub_f32_e32 v46, v50, v46
	v_sub_f32_e32 v50, v67, v90
	v_mov_b32_e32 v64, v60
	v_mov_b32_e32 v77, v75
	;; [unrolled: 1-line block ×4, first 2 shown]
	v_mul_f32_e32 v57, 0xbf68dda4, v50
	v_fma_f32 v60, v58, s3, -v60
	v_fmac_f32_e32 v64, 0x3f575c64, v58
	v_fma_f32 v62, v58, s2, -v62
	v_fmac_f32_e32 v77, 0xbe11bafb, v58
	;; [unrolled: 2-line block ×4, first 2 shown]
	v_fma_f32 v8, v58, s10, -v8
	v_fma_f32 v58, v48, s2, -v57
	v_add_f32_e32 v60, v49, v60
	v_add_f32_e32 v64, v49, v64
	;; [unrolled: 1-line block ×11, first 2 shown]
	v_mul_f32_e32 v63, 0xbf68dda4, v46
	v_fmac_f32_e32 v57, 0x3ed4b147, v48
	v_add_f32_e32 v57, v57, v59
	v_fma_f32 v59, v49, s2, -v63
	v_add_f32_e32 v59, v59, v60
	v_mul_f32_e32 v60, 0xbf4178ce, v50
	v_mov_b32_e32 v67, v63
	v_fma_f32 v63, v48, s9, -v60
	v_fmac_f32_e32 v67, 0x3ed4b147, v49
	v_add_f32_e32 v63, v63, v65
	v_mul_f32_e32 v65, 0xbf4178ce, v46
	v_fmac_f32_e32 v60, 0xbf27a4f4, v48
	v_add_f32_e32 v64, v67, v64
	v_mov_b32_e32 v67, v65
	v_add_f32_e32 v60, v60, v61
	v_fma_f32 v61, v49, s9, -v65
	v_fmac_f32_e32 v67, 0xbf27a4f4, v49
	v_add_f32_e32 v61, v61, v62
	v_mul_f32_e32 v62, 0x3e903f40, v50
	v_add_f32_e32 v47, v67, v47
	v_fma_f32 v65, v48, s10, -v62
	v_mul_f32_e32 v67, 0x3e903f40, v46
	v_add_f32_e32 v65, v65, v73
	v_mov_b32_e32 v73, v67
	v_fmac_f32_e32 v62, 0xbf75a155, v48
	v_fmac_f32_e32 v73, 0xbf75a155, v49
	v_add_f32_e32 v62, v62, v66
	v_fma_f32 v66, v49, s10, -v67
	v_mul_f32_e32 v67, 0x3f7d64f0, v50
	v_add_f32_e32 v73, v73, v77
	v_add_f32_e32 v66, v66, v75
	v_fma_f32 v75, v48, s8, -v67
	v_mul_f32_e32 v77, 0x3f7d64f0, v46
	v_fmac_f32_e32 v67, 0xbe11bafb, v48
	v_mul_f32_e32 v50, 0x3f0a6770, v50
	v_add_f32_e32 v75, v75, v81
	v_mov_b32_e32 v81, v77
	v_add_f32_e32 v67, v67, v79
	v_fma_f32 v77, v49, s8, -v77
	v_fma_f32 v79, v48, s3, -v50
	v_mul_f32_e32 v46, 0x3f0a6770, v46
	v_fmac_f32_e32 v50, 0x3f575c64, v48
	v_add_f32_e32 v77, v77, v87
	v_mov_b32_e32 v87, v46
	v_add_f32_e32 v9, v50, v9
	v_fma_f32 v46, v49, s3, -v46
	v_sub_f32_e32 v50, v74, v88
	v_fmac_f32_e32 v81, 0xbe11bafb, v49
	v_fmac_f32_e32 v87, 0x3f575c64, v49
	v_add_f32_e32 v8, v46, v8
	v_add_f32_e32 v46, v51, v56
	v_sub_f32_e32 v49, v51, v56
	v_mul_f32_e32 v51, 0xbf7d64f0, v50
	v_fma_f32 v56, v46, s8, -v51
	v_add_f32_e32 v48, v74, v88
	v_add_f32_e32 v56, v56, v58
	v_mul_f32_e32 v58, 0xbf7d64f0, v49
	v_fmac_f32_e32 v51, 0xbe11bafb, v46
	v_mov_b32_e32 v74, v58
	v_add_f32_e32 v51, v51, v57
	v_fma_f32 v57, v48, s8, -v58
	v_mul_f32_e32 v58, 0x3e903f40, v50
	v_add_f32_e32 v57, v57, v59
	v_fma_f32 v59, v46, s10, -v58
	v_add_f32_e32 v59, v59, v63
	v_mul_f32_e32 v63, 0x3e903f40, v49
	v_fmac_f32_e32 v58, 0xbf75a155, v46
	v_add_f32_e32 v58, v58, v60
	v_fma_f32 v60, v48, s10, -v63
	v_fmac_f32_e32 v74, 0xbe11bafb, v48
	v_add_f32_e32 v60, v60, v61
	v_mul_f32_e32 v61, 0x3f68dda4, v50
	v_add_f32_e32 v64, v74, v64
	v_mov_b32_e32 v74, v63
	v_fma_f32 v63, v46, s2, -v61
	v_fmac_f32_e32 v74, 0xbf75a155, v48
	v_add_f32_e32 v63, v63, v65
	v_mul_f32_e32 v65, 0x3f68dda4, v49
	v_add_f32_e32 v47, v74, v47
	v_mov_b32_e32 v74, v65
	v_fmac_f32_e32 v61, 0x3ed4b147, v46
	v_fmac_f32_e32 v74, 0x3ed4b147, v48
	v_add_f32_e32 v61, v61, v62
	v_fma_f32 v62, v48, s2, -v65
	v_mul_f32_e32 v65, 0xbf0a6770, v50
	v_add_f32_e32 v73, v74, v73
	v_add_f32_e32 v62, v62, v66
	v_fma_f32 v66, v46, s3, -v65
	v_mul_f32_e32 v74, 0xbf0a6770, v49
	v_fmac_f32_e32 v65, 0x3f575c64, v46
	v_mul_f32_e32 v50, 0xbf4178ce, v50
	v_add_f32_e32 v66, v66, v75
	v_mov_b32_e32 v75, v74
	v_add_f32_e32 v65, v65, v67
	v_fma_f32 v67, v48, s3, -v74
	v_fma_f32 v74, v46, s9, -v50
	v_mul_f32_e32 v49, 0xbf4178ce, v49
	v_fmac_f32_e32 v50, 0xbf27a4f4, v46
	v_add_f32_e32 v9, v50, v9
	v_fma_f32 v46, v48, s9, -v49
	v_sub_f32_e32 v50, v76, v82
	v_add_f32_e32 v67, v67, v77
	v_mov_b32_e32 v77, v49
	v_add_f32_e32 v8, v46, v8
	v_add_f32_e32 v46, v52, v55
	v_sub_f32_e32 v49, v52, v55
	v_mul_f32_e32 v52, 0xbf4178ce, v50
	v_fma_f32 v55, v46, s9, -v52
	v_fmac_f32_e32 v75, 0x3f575c64, v48
	v_fmac_f32_e32 v77, 0xbf27a4f4, v48
	v_add_f32_e32 v48, v76, v82
	v_add_f32_e32 v55, v55, v56
	v_mul_f32_e32 v56, 0xbf4178ce, v49
	v_fmac_f32_e32 v52, 0xbf27a4f4, v46
	v_mov_b32_e32 v76, v56
	v_add_f32_e32 v51, v52, v51
	v_fma_f32 v52, v48, s9, -v56
	v_mul_f32_e32 v56, 0x3f7d64f0, v50
	v_add_f32_e32 v52, v52, v57
	v_fma_f32 v57, v46, s8, -v56
	v_fmac_f32_e32 v76, 0xbf27a4f4, v48
	v_add_f32_e32 v57, v57, v59
	v_mul_f32_e32 v59, 0x3f7d64f0, v49
	v_add_f32_e32 v64, v76, v64
	v_mov_b32_e32 v76, v59
	v_fmac_f32_e32 v76, 0xbe11bafb, v48
	v_add_f32_e32 v76, v76, v47
	v_fmac_f32_e32 v56, 0xbe11bafb, v46
	v_fma_f32 v47, v48, s8, -v59
	v_add_f32_e32 v56, v56, v58
	v_add_f32_e32 v58, v47, v60
	v_mul_f32_e32 v47, 0xbf0a6770, v50
	v_fma_f32 v59, v46, s3, -v47
	v_mul_f32_e32 v60, 0xbf0a6770, v49
	v_fmac_f32_e32 v47, 0x3f575c64, v46
	v_add_f32_e32 v61, v47, v61
	v_fma_f32 v47, v48, s3, -v60
	v_add_f32_e32 v59, v59, v63
	v_mov_b32_e32 v63, v60
	v_add_f32_e32 v60, v47, v62
	v_mul_f32_e32 v47, 0xbe903f40, v50
	v_fma_f32 v62, v46, s10, -v47
	v_add_f32_e32 v62, v62, v66
	v_mul_f32_e32 v66, 0xbe903f40, v49
	v_fmac_f32_e32 v47, 0xbf75a155, v46
	v_fmac_f32_e32 v63, 0x3f575c64, v48
	v_add_f32_e32 v65, v47, v65
	v_fma_f32 v47, v48, s10, -v66
	v_add_f32_e32 v79, v79, v91
	v_add_f32_e32 v63, v63, v73
	v_mov_b32_e32 v73, v66
	v_add_f32_e32 v66, v47, v67
	v_mul_f32_e32 v47, 0x3f68dda4, v50
	v_add_f32_e32 v81, v81, v89
	v_add_f32_e32 v74, v74, v79
	v_fma_f32 v50, v46, s2, -v47
	v_mul_f32_e32 v49, 0x3f68dda4, v49
	v_add_f32_e32 v87, v87, v92
	v_add_f32_e32 v75, v75, v81
	v_fmac_f32_e32 v73, 0xbf75a155, v48
	v_add_f32_e32 v67, v50, v74
	v_mov_b32_e32 v50, v49
	v_fmac_f32_e32 v47, 0x3ed4b147, v46
	v_add_f32_e32 v77, v77, v87
	v_add_f32_e32 v73, v73, v75
	v_fmac_f32_e32 v50, 0x3ed4b147, v48
	v_add_f32_e32 v75, v47, v9
	v_fma_f32 v9, v48, s2, -v49
	v_add_f32_e32 v81, v78, v80
	v_sub_f32_e32 v78, v78, v80
	v_add_f32_e32 v74, v50, v77
	v_add_f32_e32 v77, v9, v8
	;; [unrolled: 1-line block ×3, first 2 shown]
	v_mul_f32_e32 v8, 0xbe903f40, v78
	v_sub_f32_e32 v82, v53, v54
	v_fma_f32 v9, v79, s10, -v8
	v_add_f32_e32 v46, v9, v55
	v_mul_f32_e32 v9, 0xbe903f40, v82
	v_fmac_f32_e32 v8, 0xbf75a155, v79
	v_mul_f32_e32 v50, 0x3f0a6770, v78
	v_mov_b32_e32 v47, v9
	v_add_f32_e32 v8, v8, v51
	v_fma_f32 v9, v81, s10, -v9
	v_fma_f32 v48, v79, s3, -v50
	v_mul_f32_e32 v51, 0x3f0a6770, v82
	v_fmac_f32_e32 v50, 0x3f575c64, v79
	v_add_f32_e32 v9, v9, v52
	v_add_f32_e32 v54, v50, v56
	v_fma_f32 v50, v81, s3, -v51
	v_mul_f32_e32 v52, 0xbf4178ce, v78
	v_add_f32_e32 v55, v50, v58
	v_fma_f32 v50, v79, s9, -v52
	v_mul_f32_e32 v53, 0xbf4178ce, v82
	v_fmac_f32_e32 v52, 0xbf27a4f4, v79
	v_mul_f32_e32 v58, 0x3f68dda4, v78
	v_mov_b32_e32 v49, v51
	v_add_f32_e32 v50, v50, v59
	v_mov_b32_e32 v51, v53
	v_add_f32_e32 v52, v52, v61
	v_fma_f32 v53, v81, s9, -v53
	v_fma_f32 v56, v79, s2, -v58
	v_mul_f32_e32 v59, 0x3f68dda4, v82
	v_fmac_f32_e32 v58, 0x3ed4b147, v79
	v_mul_f32_e32 v61, 0xbf7d64f0, v82
	v_add_f32_e32 v48, v48, v57
	v_fmac_f32_e32 v51, 0xbf27a4f4, v81
	v_add_f32_e32 v53, v53, v60
	v_add_f32_e32 v56, v56, v62
	v_mov_b32_e32 v57, v59
	v_add_f32_e32 v62, v58, v65
	v_fma_f32 v58, v81, s2, -v59
	v_mul_f32_e32 v60, 0xbf7d64f0, v78
	v_mov_b32_e32 v59, v61
	v_fmac_f32_e32 v47, 0xbf75a155, v81
	v_fmac_f32_e32 v49, 0x3f575c64, v81
	v_add_f32_e32 v51, v51, v63
	v_fmac_f32_e32 v57, 0x3ed4b147, v81
	v_add_f32_e32 v63, v58, v66
	v_fma_f32 v58, v79, s8, -v60
	v_fmac_f32_e32 v59, 0xbe11bafb, v81
	v_fmac_f32_e32 v60, 0xbe11bafb, v79
	v_fma_f32 v61, v81, s8, -v61
	v_add_f32_e32 v47, v47, v64
	v_add_f32_e32 v49, v49, v76
	;; [unrolled: 1-line block ×7, first 2 shown]
	s_and_saveexec_b64 s[2:3], s[0:1]
	s_cbranch_execz .LBB0_11
; %bb.10:
	v_add_u32_e32 v64, 0x800, v84
	ds_write2_b64 v64, v[48:49], v[50:51] offset0:16 offset1:152
	v_add_u32_e32 v64, 0x1000, v84
	ds_write2_b64 v64, v[56:57], v[58:59] offset0:32 offset1:168
	;; [unrolled: 2-line block ×3, first 2 shown]
	v_add_u32_e32 v64, 0x2000, v84
	ds_write2_b64 v84, v[44:45], v[46:47] offset1:136
	ds_write2_b64 v64, v[52:53], v[54:55] offset0:64 offset1:200
	ds_write_b64 v84, v[8:9] offset:10880
.LBB0_11:
	s_or_b64 exec, exec, s[2:3]
	s_waitcnt lgkmcnt(0)
	s_barrier
	s_and_saveexec_b64 s[8:9], vcc
	s_cbranch_execz .LBB0_13
; %bb.12:
	s_add_u32 s10, s12, 0x2ec0
	s_addc_u32 s11, s13, 0
	global_load_dwordx2 v[64:65], v84, s[10:11]
	v_mov_b32_e32 v66, s11
	v_add_co_u32_e64 v73, s[2:3], s10, v84
	s_movk_i32 s16, 0x1000
	v_addc_co_u32_e64 v74, s[2:3], 0, v66, s[2:3]
	v_add_co_u32_e64 v66, s[2:3], s16, v73
	v_addc_co_u32_e64 v67, s[2:3], 0, v74, s[2:3]
	global_load_dwordx2 v[81:82], v84, s[10:11] offset:704
	global_load_dwordx2 v[99:100], v84, s[10:11] offset:1408
	;; [unrolled: 1-line block ×5, first 2 shown]
	global_load_dwordx2 v[107:108], v[66:67], off offset:128
	global_load_dwordx2 v[109:110], v[66:67], off offset:832
	;; [unrolled: 1-line block ×6, first 2 shown]
	s_movk_i32 s2, 0x2000
	v_add_co_u32_e64 v66, s[2:3], s2, v73
	v_addc_co_u32_e64 v67, s[2:3], 0, v74, s[2:3]
	global_load_dwordx2 v[119:120], v[66:67], off offset:256
	global_load_dwordx2 v[121:122], v[66:67], off offset:960
	;; [unrolled: 1-line block ×3, first 2 shown]
	ds_read_b64 v[73:74], v84
	v_or_b32_e32 v75, 0x2c00, v84
	global_load_dwordx2 v[125:126], v[66:67], off offset:2368
	global_load_dwordx2 v[127:128], v75, s[10:11]
	v_add_u32_e32 v131, 0x800, v84
	v_add_u32_e32 v132, 0xc00, v84
	;; [unrolled: 1-line block ×5, first 2 shown]
	s_waitcnt vmcnt(16) lgkmcnt(0)
	v_mul_f32_e32 v67, v74, v65
	v_mul_f32_e32 v66, v73, v65
	v_fma_f32 v65, v73, v64, -v67
	v_fmac_f32_e32 v66, v74, v64
	ds_write_b64 v84, v[65:66]
	ds_read2_b64 v[64:67], v84 offset0:88 offset1:176
	ds_read2_b64 v[73:76], v131 offset0:8 offset1:96
	;; [unrolled: 1-line block ×6, first 2 shown]
	s_waitcnt vmcnt(15) lgkmcnt(5)
	v_mul_f32_e32 v130, v64, v82
	v_mul_f32_e32 v129, v65, v82
	s_waitcnt vmcnt(14)
	v_mul_f32_e32 v136, v67, v100
	v_mul_f32_e32 v82, v66, v100
	s_waitcnt vmcnt(13) lgkmcnt(4)
	v_mul_f32_e32 v137, v74, v102
	v_mul_f32_e32 v100, v73, v102
	s_waitcnt vmcnt(12)
	v_mul_f32_e32 v138, v76, v104
	v_mul_f32_e32 v102, v75, v104
	;; [unrolled: 6-line block ×4, first 2 shown]
	s_waitcnt vmcnt(7) lgkmcnt(1)
	v_mul_f32_e32 v143, v92, v114
	v_mul_f32_e32 v112, v91, v114
	s_waitcnt vmcnt(6)
	v_mul_f32_e32 v114, v94, v116
	v_fmac_f32_e32 v130, v65, v81
	v_mul_f32_e32 v65, v93, v116
	v_fma_f32 v129, v64, v81, -v129
	v_fma_f32 v81, v66, v99, -v136
	v_fmac_f32_e32 v82, v67, v99
	v_fma_f32 v99, v73, v101, -v137
	v_fmac_f32_e32 v100, v74, v101
	;; [unrolled: 2-line block ×9, first 2 shown]
	ds_write2_b64 v84, v[129:130], v[81:82] offset0:88 offset1:176
	ds_write2_b64 v131, v[99:100], v[101:102] offset0:8 offset1:96
	;; [unrolled: 1-line block ×5, first 2 shown]
	s_waitcnt vmcnt(5) lgkmcnt(5)
	v_mul_f32_e32 v64, v96, v118
	v_add_u32_e32 v79, 0x2000, v84
	v_fma_f32 v73, v95, v117, -v64
	ds_read2_b64 v[64:67], v79 offset0:120 offset1:208
	v_mul_f32_e32 v74, v95, v118
	s_waitcnt vmcnt(4)
	v_mul_f32_e32 v75, v98, v120
	v_mul_f32_e32 v76, v97, v120
	v_fmac_f32_e32 v74, v96, v117
	v_fma_f32 v75, v97, v119, -v75
	v_fmac_f32_e32 v76, v98, v119
	ds_write2_b64 v135, v[73:74], v[75:76] offset0:72 offset1:160
	s_waitcnt vmcnt(3) lgkmcnt(1)
	v_mul_f32_e32 v73, v65, v122
	v_add_u32_e32 v80, 0x2800, v84
	v_fma_f32 v77, v64, v121, -v73
	ds_read2_b64 v[73:76], v80 offset0:40 offset1:128
	v_mul_f32_e32 v78, v64, v122
	v_fmac_f32_e32 v78, v65, v121
	s_waitcnt vmcnt(2)
	v_mul_f32_e32 v64, v67, v124
	v_mul_f32_e32 v65, v66, v124
	v_fma_f32 v64, v66, v123, -v64
	v_fmac_f32_e32 v65, v67, v123
	ds_write2_b64 v79, v[77:78], v[64:65] offset0:120 offset1:208
	s_waitcnt vmcnt(1) lgkmcnt(1)
	v_mul_f32_e32 v64, v74, v126
	v_mul_f32_e32 v65, v73, v126
	s_waitcnt vmcnt(0)
	v_mul_f32_e32 v66, v76, v128
	v_mul_f32_e32 v67, v75, v128
	v_fma_f32 v64, v73, v125, -v64
	v_fmac_f32_e32 v65, v74, v125
	v_fma_f32 v66, v75, v127, -v66
	v_fmac_f32_e32 v67, v76, v127
	ds_write2_b64 v80, v[64:65], v[66:67] offset0:40 offset1:128
.LBB0_13:
	s_or_b64 exec, exec, s[8:9]
	s_waitcnt lgkmcnt(0)
	s_barrier
	s_and_saveexec_b64 s[2:3], vcc
	s_cbranch_execz .LBB0_15
; %bb.14:
	v_add_u32_e32 v0, 0x400, v84
	ds_read2_b64 v[48:51], v0 offset0:48 offset1:136
	v_add_u32_e32 v0, 0x800, v84
	ds_read2_b64 v[56:59], v0 offset0:96 offset1:184
	;; [unrolled: 2-line block ×6, first 2 shown]
	v_add_u32_e32 v0, 0x2400, v84
	ds_read2_b64 v[44:47], v84 offset1:88
	ds_read2_b64 v[0:3], v0 offset0:80 offset1:168
	ds_read_b64 v[69:70], v84 offset:11264
.LBB0_15:
	s_or_b64 exec, exec, s[2:3]
	s_waitcnt lgkmcnt(0)
	v_sub_f32_e32 v103, v47, v70
	v_add_f32_e32 v87, v69, v46
	v_add_f32_e32 v105, v70, v47
	s_mov_b32 s8, 0xbf59a7d5
	v_mul_f32_e32 v75, 0xbf06c442, v103
	v_sub_f32_e32 v104, v49, v3
	v_mul_f32_e32 v76, 0xbf59a7d5, v105
	v_fma_f32 v64, v87, s8, -v75
	v_add_f32_e32 v88, v2, v48
	v_add_f32_e32 v107, v3, v49
	s_mov_b32 s10, 0x3ee437d1
	v_mul_f32_e32 v77, 0x3f65296c, v104
	v_sub_f32_e32 v89, v46, v69
	v_add_f32_e32 v64, v44, v64
	v_mov_b32_e32 v65, v76
	v_mul_f32_e32 v78, 0x3ee437d1, v107
	v_fma_f32 v79, v88, s10, -v77
	v_fmac_f32_e32 v65, 0xbf06c442, v89
	v_sub_f32_e32 v90, v48, v2
	v_add_f32_e32 v64, v79, v64
	v_mov_b32_e32 v79, v78
	v_add_f32_e32 v65, v45, v65
	v_mul_f32_e32 v66, 0xbe3c28d5, v103
	v_fmac_f32_e32 v79, 0x3f65296c, v90
	v_mov_b32_e32 v67, v66
	v_add_f32_e32 v65, v79, v65
	v_mul_f32_e32 v79, 0x3eb8f4ab, v104
	v_fmac_f32_e32 v67, 0xbf7ba420, v87
	v_mov_b32_e32 v80, v79
	s_mov_b32 s9, 0xbf7ba420
	v_add_f32_e32 v67, v44, v67
	v_mul_f32_e32 v73, 0xbf7ba420, v105
	v_fmac_f32_e32 v80, 0x3f6eb680, v88
	v_mov_b32_e32 v74, v73
	v_fma_f32 v66, v87, s9, -v66
	s_mov_b32 s11, 0x3f6eb680
	v_add_f32_e32 v67, v80, v67
	v_mul_f32_e32 v80, 0x3f6eb680, v107
	v_fmac_f32_e32 v74, 0x3e3c28d5, v89
	v_add_f32_e32 v66, v44, v66
	v_fmac_f32_e32 v73, 0xbe3c28d5, v89
	v_mov_b32_e32 v81, v80
	v_fma_f32 v79, v88, s11, -v79
	v_sub_f32_e32 v106, v51, v1
	v_add_f32_e32 v74, v45, v74
	v_add_f32_e32 v73, v45, v73
	v_fmac_f32_e32 v81, 0xbeb8f4ab, v90
	v_add_f32_e32 v66, v79, v66
	v_fmac_f32_e32 v80, 0x3eb8f4ab, v90
	v_add_f32_e32 v91, v0, v50
	v_add_f32_e32 v109, v1, v51
	s_mov_b32 s16, 0x3dbcf732
	v_mul_f32_e32 v79, 0xbf7ee86f, v106
	v_add_f32_e32 v74, v81, v74
	v_add_f32_e32 v73, v80, v73
	v_mul_f32_e32 v80, 0x3dbcf732, v109
	v_fma_f32 v81, v91, s16, -v79
	v_sub_f32_e32 v92, v50, v0
	v_add_f32_e32 v64, v81, v64
	v_mov_b32_e32 v81, v80
	v_fmac_f32_e32 v81, 0xbf7ee86f, v92
	v_add_f32_e32 v65, v81, v65
	v_mul_f32_e32 v81, 0xbf06c442, v106
	v_mov_b32_e32 v82, v81
	v_fmac_f32_e32 v82, 0xbf59a7d5, v91
	v_add_f32_e32 v67, v82, v67
	v_mul_f32_e32 v82, 0xbf59a7d5, v109
	v_mov_b32_e32 v93, v82
	v_fmac_f32_e32 v93, 0x3f06c442, v92
	v_fma_f32 v81, v91, s8, -v81
	v_sub_f32_e32 v108, v57, v7
	v_add_f32_e32 v74, v93, v74
	v_add_f32_e32 v66, v81, v66
	v_fmac_f32_e32 v82, 0xbf06c442, v92
	v_add_f32_e32 v93, v6, v56
	v_add_f32_e32 v111, v7, v57
	s_mov_b32 s17, 0xbf1a4643
	v_mul_f32_e32 v81, 0x3f4c4adb, v108
	v_add_f32_e32 v73, v82, v73
	v_mul_f32_e32 v82, 0xbf1a4643, v111
	v_fma_f32 v95, v93, s17, -v81
	v_sub_f32_e32 v94, v56, v6
	v_add_f32_e32 v64, v95, v64
	v_mov_b32_e32 v95, v82
	v_fmac_f32_e32 v95, 0x3f4c4adb, v94
	v_add_f32_e32 v65, v95, v65
	v_mul_f32_e32 v95, 0x3f2c7751, v108
	v_mov_b32_e32 v96, v95
	v_fmac_f32_e32 v96, 0x3f3d2fb0, v93
	s_mov_b32 s18, 0x3f3d2fb0
	v_add_f32_e32 v67, v96, v67
	v_mul_f32_e32 v96, 0x3f3d2fb0, v111
	v_mov_b32_e32 v97, v96
	v_fma_f32 v95, v93, s18, -v95
	v_sub_f32_e32 v110, v59, v5
	v_fmac_f32_e32 v97, 0xbf2c7751, v94
	v_add_f32_e32 v66, v95, v66
	v_add_f32_e32 v95, v4, v58
	v_add_f32_e32 v113, v5, v59
	v_mul_f32_e32 v119, 0xbeb8f4ab, v110
	v_add_f32_e32 v74, v97, v74
	v_fmac_f32_e32 v96, 0x3f2c7751, v94
	v_mul_f32_e32 v120, 0x3f6eb680, v113
	v_fma_f32 v97, v95, s11, -v119
	v_add_f32_e32 v73, v96, v73
	v_sub_f32_e32 v96, v58, v4
	v_add_f32_e32 v64, v97, v64
	v_mov_b32_e32 v97, v120
	v_fmac_f32_e32 v97, 0xbeb8f4ab, v96
	v_add_f32_e32 v65, v97, v65
	v_mul_f32_e32 v97, 0xbf4c4adb, v110
	v_mov_b32_e32 v98, v97
	v_fmac_f32_e32 v98, 0xbf1a4643, v95
	v_add_f32_e32 v67, v98, v67
	v_mul_f32_e32 v98, 0xbf1a4643, v113
	v_mov_b32_e32 v99, v98
	v_fma_f32 v97, v95, s17, -v97
	v_sub_f32_e32 v112, v61, v11
	v_fmac_f32_e32 v99, 0x3f4c4adb, v96
	v_add_f32_e32 v66, v97, v66
	v_add_f32_e32 v97, v10, v60
	v_add_f32_e32 v115, v11, v61
	v_mul_f32_e32 v121, 0xbe3c28d5, v112
	v_add_f32_e32 v74, v99, v74
	v_fmac_f32_e32 v98, 0xbf4c4adb, v96
	v_mul_f32_e32 v122, 0xbf7ba420, v115
	v_fma_f32 v99, v97, s9, -v121
	v_add_f32_e32 v73, v98, v73
	v_sub_f32_e32 v98, v60, v10
	v_add_f32_e32 v64, v99, v64
	v_mov_b32_e32 v99, v122
	v_fmac_f32_e32 v99, 0xbe3c28d5, v98
	v_add_f32_e32 v65, v99, v65
	v_mul_f32_e32 v99, 0x3f65296c, v112
	v_mov_b32_e32 v100, v99
	v_fmac_f32_e32 v100, 0x3ee437d1, v97
	;; [unrolled: 23-line block ×3, first 2 shown]
	v_add_f32_e32 v67, v102, v67
	v_mul_f32_e32 v102, 0xbe8c1d8e, v117
	v_mov_b32_e32 v116, v102
	v_fmac_f32_e32 v116, 0x3f763a35, v100
	s_mov_b32 s19, 0xbe8c1d8e
	v_add_f32_e32 v127, v116, v74
	v_sub_f32_e32 v116, v53, v55
	v_fma_f32 v74, v99, s19, -v101
	v_fmac_f32_e32 v102, 0xbf763a35, v100
	v_add_f32_e32 v101, v54, v52
	v_add_f32_e32 v118, v55, v53
	v_mul_f32_e32 v125, 0xbf763a35, v116
	v_add_f32_e32 v128, v102, v73
	v_mul_f32_e32 v126, 0xbe8c1d8e, v118
	v_fma_f32 v73, v101, s19, -v125
	v_sub_f32_e32 v102, v52, v54
	v_add_f32_e32 v73, v73, v64
	v_mov_b32_e32 v64, v126
	v_fmac_f32_e32 v64, 0xbf763a35, v102
	v_mul_f32_e32 v129, 0x3f7ee86f, v116
	v_add_f32_e32 v66, v74, v66
	v_add_f32_e32 v74, v64, v65
	v_mov_b32_e32 v64, v129
	v_fmac_f32_e32 v64, 0x3dbcf732, v101
	v_add_f32_e32 v64, v64, v67
	v_mul_f32_e32 v67, 0x3dbcf732, v118
	v_mov_b32_e32 v65, v67
	v_fmac_f32_e32 v65, 0xbf7ee86f, v102
	v_add_f32_e32 v65, v65, v127
	v_fma_f32 v127, v101, s16, -v129
	v_fmac_f32_e32 v67, 0x3f7ee86f, v102
	v_add_f32_e32 v66, v127, v66
	v_add_f32_e32 v67, v67, v128
	s_barrier
	s_and_saveexec_b64 s[2:3], vcc
	s_cbranch_execz .LBB0_17
; %bb.16:
	v_mul_f32_e32 v127, 0xbf59a7d5, v87
	v_mul_f32_e32 v128, 0xbf06c442, v89
	;; [unrolled: 1-line block ×3, first 2 shown]
	v_add_f32_e32 v75, v127, v75
	v_mul_f32_e32 v130, 0x3f65296c, v90
	v_mul_f32_e32 v131, 0x3dbcf732, v91
	v_sub_f32_e32 v76, v76, v128
	v_add_f32_e32 v75, v44, v75
	v_add_f32_e32 v77, v129, v77
	v_mul_f32_e32 v132, 0xbf7ee86f, v92
	v_mul_f32_e32 v133, 0xbf1a4643, v93
	v_add_f32_e32 v76, v45, v76
	v_sub_f32_e32 v78, v78, v130
	v_add_f32_e32 v75, v77, v75
	v_add_f32_e32 v77, v131, v79
	v_mul_f32_e32 v134, 0x3f4c4adb, v94
	v_mul_f32_e32 v135, 0x3f6eb680, v95
	v_add_f32_e32 v76, v78, v76
	;; [unrolled: 6-line block ×5, first 2 shown]
	v_sub_f32_e32 v78, v122, v138
	v_add_f32_e32 v75, v77, v75
	v_add_f32_e32 v77, v139, v123
	v_mul_f32_e32 v142, 0xbf763a35, v102
	v_add_f32_e32 v76, v78, v76
	v_sub_f32_e32 v78, v124, v140
	v_add_f32_e32 v75, v77, v75
	v_add_f32_e32 v77, v141, v125
	v_mul_f32_e32 v123, 0xbf1a4643, v105
	v_add_f32_e32 v76, v78, v76
	v_sub_f32_e32 v78, v126, v142
	v_add_f32_e32 v75, v77, v75
	v_mov_b32_e32 v77, v123
	v_mul_f32_e32 v124, 0xbe8c1d8e, v107
	v_add_f32_e32 v76, v78, v76
	v_fmac_f32_e32 v77, 0x3f4c4adb, v89
	v_mov_b32_e32 v78, v124
	v_add_f32_e32 v77, v45, v77
	v_fmac_f32_e32 v78, 0xbf763a35, v90
	v_mul_f32_e32 v125, 0x3f6eb680, v109
	v_add_f32_e32 v77, v78, v77
	v_mov_b32_e32 v78, v125
	v_fmac_f32_e32 v78, 0x3eb8f4ab, v92
	v_mul_f32_e32 v126, 0xbf59a7d5, v111
	v_add_f32_e32 v77, v78, v77
	v_mov_b32_e32 v78, v126
	v_fmac_f32_e32 v78, 0x3f06c442, v94
	v_mul_f32_e32 v127, 0x3dbcf732, v113
	v_add_f32_e32 v77, v78, v77
	v_mov_b32_e32 v78, v127
	v_fmac_f32_e32 v78, 0xbf7ee86f, v96
	v_mul_f32_e32 v128, 0x3f3d2fb0, v115
	v_add_f32_e32 v77, v78, v77
	v_mov_b32_e32 v78, v128
	v_fmac_f32_e32 v78, 0x3f2c7751, v98
	v_mul_f32_e32 v129, 0xbf7ba420, v117
	v_add_f32_e32 v77, v78, v77
	v_mov_b32_e32 v78, v129
	v_fmac_f32_e32 v78, 0x3e3c28d5, v100
	v_mul_f32_e32 v130, 0x3ee437d1, v118
	v_add_f32_e32 v77, v78, v77
	v_mov_b32_e32 v78, v130
	v_fmac_f32_e32 v78, 0xbf65296c, v102
	v_mul_f32_e32 v131, 0xbf4c4adb, v103
	v_add_f32_e32 v78, v78, v77
	v_mov_b32_e32 v77, v131
	v_mul_f32_e32 v132, 0x3f763a35, v104
	v_fmac_f32_e32 v77, 0xbf1a4643, v87
	v_mov_b32_e32 v79, v132
	v_add_f32_e32 v77, v44, v77
	v_fmac_f32_e32 v79, 0xbe8c1d8e, v88
	v_mul_f32_e32 v133, 0xbeb8f4ab, v106
	v_add_f32_e32 v77, v79, v77
	v_mov_b32_e32 v79, v133
	v_fmac_f32_e32 v79, 0x3f6eb680, v91
	v_mul_f32_e32 v134, 0xbf06c442, v108
	v_add_f32_e32 v77, v79, v77
	v_mov_b32_e32 v79, v134
	v_fmac_f32_e32 v79, 0xbf59a7d5, v93
	v_mul_f32_e32 v135, 0x3f7ee86f, v110
	v_add_f32_e32 v77, v79, v77
	v_mov_b32_e32 v79, v135
	v_fmac_f32_e32 v79, 0x3dbcf732, v95
	v_mul_f32_e32 v136, 0xbf2c7751, v112
	v_add_f32_e32 v77, v79, v77
	v_mov_b32_e32 v79, v136
	v_fmac_f32_e32 v79, 0x3f3d2fb0, v97
	v_mul_f32_e32 v137, 0xbe3c28d5, v114
	v_add_f32_e32 v77, v79, v77
	v_mov_b32_e32 v79, v137
	v_fmac_f32_e32 v79, 0xbf7ba420, v99
	v_mul_f32_e32 v138, 0x3f65296c, v116
	v_add_f32_e32 v77, v79, v77
	v_mov_b32_e32 v79, v138
	v_fmac_f32_e32 v79, 0x3ee437d1, v101
	v_mul_f32_e32 v139, 0xbe8c1d8e, v105
	v_add_f32_e32 v77, v79, v77
	v_mov_b32_e32 v79, v139
	v_mul_f32_e32 v140, 0xbf59a7d5, v107
	;; [unrolled: 32-line block ×5, first 2 shown]
	v_fmac_f32_e32 v81, 0x3dbcf732, v87
	v_mov_b32_e32 v119, v164
	v_add_f32_e32 v47, v47, v45
	v_add_f32_e32 v81, v44, v81
	v_fmac_f32_e32 v119, 0xbf7ba420, v88
	v_mul_f32_e32 v165, 0x3f763a35, v106
	v_add_f32_e32 v47, v49, v47
	v_add_f32_e32 v81, v119, v81
	v_mov_b32_e32 v119, v165
	v_add_f32_e32 v47, v51, v47
	v_fmac_f32_e32 v119, 0xbe8c1d8e, v91
	v_mul_f32_e32 v166, 0x3eb8f4ab, v108
	v_add_f32_e32 v47, v57, v47
	v_add_f32_e32 v81, v119, v81
	v_mov_b32_e32 v119, v166
	v_add_f32_e32 v47, v59, v47
	v_fmac_f32_e32 v119, 0x3f6eb680, v93
	v_mul_f32_e32 v167, 0xbf65296c, v110
	v_add_f32_e32 v47, v61, v47
	v_add_f32_e32 v81, v119, v81
	v_mov_b32_e32 v119, v167
	v_add_f32_e32 v47, v63, v47
	v_fmac_f32_e32 v119, 0x3ee437d1, v95
	v_mul_f32_e32 v168, 0xbf06c442, v112
	v_add_f32_e32 v47, v53, v47
	v_add_f32_e32 v81, v119, v81
	v_mov_b32_e32 v119, v168
	v_add_f32_e32 v47, v55, v47
	v_fmac_f32_e32 v119, 0xbf59a7d5, v97
	v_mul_f32_e32 v169, 0x3f4c4adb, v114
	v_add_f32_e32 v9, v9, v47
	v_add_f32_e32 v81, v119, v81
	v_mov_b32_e32 v119, v169
	v_add_f32_e32 v9, v11, v9
	v_fmac_f32_e32 v119, 0xbf1a4643, v99
	v_mul_f32_e32 v170, 0x3f2c7751, v116
	v_add_f32_e32 v5, v5, v9
	v_add_f32_e32 v81, v119, v81
	v_mov_b32_e32 v119, v170
	v_add_f32_e32 v5, v7, v5
	v_fmac_f32_e32 v119, 0x3f3d2fb0, v101
	v_mul_f32_e32 v171, 0x3ee437d1, v105
	v_add_f32_e32 v1, v1, v5
	v_add_f32_e32 v81, v119, v81
	v_mov_b32_e32 v119, v171
	v_mul_f32_e32 v172, 0xbf1a4643, v107
	v_add_f32_e32 v1, v3, v1
	v_add_f32_e32 v3, v46, v44
	v_fmac_f32_e32 v119, 0x3f65296c, v89
	v_mov_b32_e32 v120, v172
	v_add_f32_e32 v3, v48, v3
	v_add_f32_e32 v119, v45, v119
	v_fmac_f32_e32 v120, 0x3f4c4adb, v90
	v_mul_f32_e32 v173, 0xbf7ba420, v109
	v_add_f32_e32 v3, v50, v3
	v_add_f32_e32 v119, v120, v119
	v_mov_b32_e32 v120, v173
	v_add_f32_e32 v3, v56, v3
	v_fmac_f32_e32 v120, 0xbe3c28d5, v92
	v_mul_f32_e32 v174, 0xbe8c1d8e, v111
	v_add_f32_e32 v3, v58, v3
	v_add_f32_e32 v119, v120, v119
	v_mov_b32_e32 v120, v174
	;; [unrolled: 6-line block ×6, first 2 shown]
	v_add_f32_e32 v0, v0, v3
	v_fmac_f32_e32 v123, 0xbf4c4adb, v89
	v_fmac_f32_e32 v120, 0x3f06c442, v102
	v_mul_f32_e32 v179, 0xbf65296c, v103
	v_add_f32_e32 v0, v2, v0
	v_add_f32_e32 v2, v45, v123
	v_fmac_f32_e32 v124, 0x3f763a35, v90
	v_add_f32_e32 v120, v120, v119
	v_mov_b32_e32 v119, v179
	v_mul_f32_e32 v180, 0xbf4c4adb, v104
	v_add_f32_e32 v2, v124, v2
	v_fmac_f32_e32 v125, 0xbeb8f4ab, v92
	v_fmac_f32_e32 v119, 0x3ee437d1, v87
	v_mov_b32_e32 v121, v180
	v_add_f32_e32 v2, v125, v2
	v_fmac_f32_e32 v126, 0xbf06c442, v94
	v_add_f32_e32 v119, v44, v119
	v_fmac_f32_e32 v121, 0xbf1a4643, v88
	v_mul_f32_e32 v181, 0x3e3c28d5, v106
	v_add_f32_e32 v2, v126, v2
	v_fmac_f32_e32 v127, 0x3f7ee86f, v96
	v_add_f32_e32 v119, v121, v119
	v_mov_b32_e32 v121, v181
	v_add_f32_e32 v2, v127, v2
	v_fmac_f32_e32 v128, 0xbf2c7751, v98
	v_fmac_f32_e32 v121, 0xbf7ba420, v91
	v_mul_f32_e32 v182, 0x3f763a35, v108
	v_add_f32_e32 v2, v128, v2
	v_fmac_f32_e32 v129, 0xbe3c28d5, v100
	v_add_f32_e32 v119, v121, v119
	v_mov_b32_e32 v121, v182
	v_add_f32_e32 v2, v129, v2
	v_fmac_f32_e32 v130, 0x3f65296c, v102
	v_fmac_f32_e32 v121, 0xbe8c1d8e, v93
	v_mul_f32_e32 v183, 0x3f2c7751, v110
	v_add_f32_e32 v3, v130, v2
	v_fma_f32 v2, v87, s17, -v131
	v_add_f32_e32 v119, v121, v119
	v_mov_b32_e32 v121, v183
	v_add_f32_e32 v2, v44, v2
	v_fma_f32 v4, v88, s19, -v132
	v_fmac_f32_e32 v121, 0x3f3d2fb0, v95
	v_mul_f32_e32 v184, 0xbeb8f4ab, v112
	v_add_f32_e32 v2, v4, v2
	v_fma_f32 v4, v91, s11, -v133
	v_add_f32_e32 v119, v121, v119
	v_mov_b32_e32 v121, v184
	v_add_f32_e32 v2, v4, v2
	v_fma_f32 v4, v93, s8, -v134
	;; [unrolled: 8-line block ×4, first 2 shown]
	v_fmac_f32_e32 v139, 0xbf763a35, v89
	v_fmac_f32_e32 v121, 0xbf59a7d5, v101
	v_mul_f32_e32 v187, 0x3f3d2fb0, v105
	v_add_f32_e32 v2, v4, v2
	v_add_f32_e32 v4, v45, v139
	v_fmac_f32_e32 v140, 0x3f06c442, v90
	v_add_f32_e32 v119, v121, v119
	v_mov_b32_e32 v121, v187
	v_mul_f32_e32 v188, 0x3dbcf732, v107
	v_add_f32_e32 v4, v140, v4
	v_fmac_f32_e32 v141, 0x3f2c7751, v92
	v_fmac_f32_e32 v121, 0x3f2c7751, v89
	v_mov_b32_e32 v122, v188
	v_add_f32_e32 v4, v141, v4
	v_fmac_f32_e32 v142, 0xbf65296c, v94
	v_add_f32_e32 v121, v45, v121
	v_fmac_f32_e32 v122, 0x3f7ee86f, v90
	v_mul_f32_e32 v189, 0xbf1a4643, v109
	v_add_f32_e32 v4, v142, v4
	v_fmac_f32_e32 v143, 0xbe3c28d5, v96
	v_add_f32_e32 v121, v122, v121
	v_mov_b32_e32 v122, v189
	v_add_f32_e32 v4, v143, v4
	v_fmac_f32_e32 v144, 0x3f7ee86f, v98
	v_fmac_f32_e32 v122, 0x3f4c4adb, v92
	v_mul_f32_e32 v190, 0xbf7ba420, v111
	v_add_f32_e32 v4, v144, v4
	v_fmac_f32_e32 v145, 0xbeb8f4ab, v100
	v_add_f32_e32 v121, v122, v121
	v_mov_b32_e32 v122, v190
	v_add_f32_e32 v4, v145, v4
	v_fmac_f32_e32 v146, 0xbf4c4adb, v102
	v_fmac_f32_e32 v122, 0x3e3c28d5, v94
	v_mul_f32_e32 v191, 0xbf59a7d5, v113
	v_add_f32_e32 v5, v146, v4
	v_fma_f32 v4, v87, s19, -v147
	v_add_f32_e32 v121, v122, v121
	v_mov_b32_e32 v122, v191
	v_add_f32_e32 v4, v44, v4
	v_fma_f32 v6, v88, s8, -v148
	v_fmac_f32_e32 v122, 0xbf06c442, v96
	v_mul_f32_e32 v192, 0xbe8c1d8e, v115
	v_add_f32_e32 v4, v6, v4
	v_fma_f32 v6, v91, s18, -v149
	v_add_f32_e32 v121, v122, v121
	v_mov_b32_e32 v122, v192
	v_add_f32_e32 v4, v6, v4
	v_fma_f32 v6, v93, s10, -v150
	v_fmac_f32_e32 v122, 0xbf763a35, v98
	v_mul_f32_e32 v193, 0x3ee437d1, v117
	v_add_f32_e32 v4, v6, v4
	v_fma_f32 v6, v95, s9, -v151
	v_add_f32_e32 v121, v122, v121
	v_mov_b32_e32 v122, v193
	v_add_f32_e32 v4, v6, v4
	v_fma_f32 v6, v97, s16, -v152
	v_fmac_f32_e32 v122, 0xbf65296c, v100
	v_mul_f32_e32 v194, 0x3f6eb680, v118
	v_add_f32_e32 v4, v6, v4
	v_fma_f32 v6, v99, s11, -v153
	v_add_f32_e32 v121, v122, v121
	v_mov_b32_e32 v122, v194
	v_add_f32_e32 v4, v6, v4
	v_fma_f32 v6, v101, s17, -v154
	v_fmac_f32_e32 v155, 0xbf7ee86f, v89
	v_fmac_f32_e32 v122, 0xbeb8f4ab, v102
	v_mul_f32_e32 v195, 0xbf2c7751, v103
	v_add_f32_e32 v4, v6, v4
	v_add_f32_e32 v6, v45, v155
	v_fmac_f32_e32 v156, 0xbe3c28d5, v90
	v_add_f32_e32 v122, v122, v121
	v_mov_b32_e32 v121, v195
	v_mul_f32_e32 v196, 0xbf7ee86f, v104
	v_add_f32_e32 v6, v156, v6
	v_fmac_f32_e32 v157, 0x3f763a35, v92
	v_fmac_f32_e32 v121, 0x3f3d2fb0, v87
	v_mov_b32_e32 v197, v196
	v_add_f32_e32 v6, v157, v6
	v_fmac_f32_e32 v158, 0x3eb8f4ab, v94
	v_add_f32_e32 v121, v44, v121
	v_fmac_f32_e32 v197, 0x3dbcf732, v88
	;; [unrolled: 2-line block ×3, first 2 shown]
	v_add_f32_e32 v121, v197, v121
	v_mul_f32_e32 v197, 0xbf4c4adb, v106
	v_add_f32_e32 v6, v159, v6
	v_fmac_f32_e32 v160, 0xbf06c442, v98
	v_mov_b32_e32 v198, v197
	v_add_f32_e32 v6, v160, v6
	v_fmac_f32_e32 v161, 0x3f4c4adb, v100
	v_fmac_f32_e32 v198, 0xbf1a4643, v91
	v_add_f32_e32 v6, v161, v6
	v_fmac_f32_e32 v162, 0x3f2c7751, v102
	v_add_f32_e32 v121, v198, v121
	v_mul_f32_e32 v198, 0xbe3c28d5, v108
	v_add_f32_e32 v7, v162, v6
	v_fma_f32 v6, v87, s16, -v163
	v_mov_b32_e32 v199, v198
	v_add_f32_e32 v6, v44, v6
	v_fma_f32 v8, v88, s9, -v164
	v_fmac_f32_e32 v199, 0xbf7ba420, v93
	v_add_f32_e32 v6, v8, v6
	v_fma_f32 v8, v91, s19, -v165
	v_add_f32_e32 v121, v199, v121
	v_mul_f32_e32 v199, 0x3f06c442, v110
	v_add_f32_e32 v6, v8, v6
	v_fma_f32 v8, v93, s11, -v166
	v_mov_b32_e32 v200, v199
	v_add_f32_e32 v6, v8, v6
	v_fma_f32 v8, v95, s10, -v167
	v_fmac_f32_e32 v200, 0xbf59a7d5, v95
	v_add_f32_e32 v6, v8, v6
	v_fma_f32 v8, v97, s8, -v168
	v_add_f32_e32 v121, v200, v121
	v_mul_f32_e32 v200, 0x3f763a35, v112
	v_add_f32_e32 v6, v8, v6
	v_fma_f32 v8, v99, s17, -v169
	v_mov_b32_e32 v201, v200
	v_add_f32_e32 v6, v8, v6
	v_fma_f32 v8, v101, s18, -v170
	v_fmac_f32_e32 v171, 0xbf65296c, v89
	v_fmac_f32_e32 v201, 0xbe8c1d8e, v97
	v_add_f32_e32 v6, v8, v6
	v_add_f32_e32 v8, v45, v171
	v_fmac_f32_e32 v172, 0xbf4c4adb, v90
	v_add_f32_e32 v121, v201, v121
	v_mul_f32_e32 v201, 0x3f65296c, v114
	v_add_f32_e32 v8, v172, v8
	v_fmac_f32_e32 v173, 0x3e3c28d5, v92
	v_mov_b32_e32 v202, v201
	v_add_f32_e32 v8, v173, v8
	v_fmac_f32_e32 v174, 0x3f763a35, v94
	v_fmac_f32_e32 v202, 0x3ee437d1, v99
	v_add_f32_e32 v8, v174, v8
	v_fmac_f32_e32 v175, 0x3f2c7751, v96
	v_add_f32_e32 v121, v202, v121
	v_mul_f32_e32 v202, 0x3eb8f4ab, v116
	v_add_f32_e32 v8, v175, v8
	v_fmac_f32_e32 v176, 0xbeb8f4ab, v98
	v_mov_b32_e32 v203, v202
	v_add_f32_e32 v8, v176, v8
	v_fmac_f32_e32 v177, 0xbf7ee86f, v100
	v_fmac_f32_e32 v203, 0x3f6eb680, v101
	v_add_f32_e32 v8, v177, v8
	v_fmac_f32_e32 v178, 0xbf06c442, v102
	v_add_f32_e32 v121, v203, v121
	v_mul_f32_e32 v203, 0x3f6eb680, v105
	v_add_f32_e32 v9, v178, v8
	v_fma_f32 v8, v87, s10, -v179
	v_mov_b32_e32 v105, v203
	v_mul_f32_e32 v107, 0x3f3d2fb0, v107
	v_add_f32_e32 v8, v44, v8
	v_fma_f32 v10, v88, s17, -v180
	v_fmac_f32_e32 v105, 0x3eb8f4ab, v89
	v_mov_b32_e32 v204, v107
	v_add_f32_e32 v8, v10, v8
	v_fma_f32 v10, v91, s9, -v181
	v_add_f32_e32 v105, v45, v105
	v_fmac_f32_e32 v204, 0x3f2c7751, v90
	v_mul_f32_e32 v109, 0x3ee437d1, v109
	v_add_f32_e32 v8, v10, v8
	v_fma_f32 v10, v93, s19, -v182
	v_add_f32_e32 v105, v204, v105
	v_mov_b32_e32 v204, v109
	v_add_f32_e32 v8, v10, v8
	v_fma_f32 v10, v95, s18, -v183
	v_fmac_f32_e32 v204, 0x3f65296c, v92
	v_mul_f32_e32 v111, 0x3dbcf732, v111
	v_add_f32_e32 v8, v10, v8
	v_fma_f32 v10, v97, s11, -v184
	v_add_f32_e32 v105, v204, v105
	v_mov_b32_e32 v204, v111
	v_add_f32_e32 v8, v10, v8
	v_fma_f32 v10, v99, s16, -v185
	v_fmac_f32_e32 v204, 0x3f7ee86f, v94
	v_mul_f32_e32 v113, 0xbe8c1d8e, v113
	v_add_f32_e32 v8, v10, v8
	v_fma_f32 v10, v101, s8, -v186
	v_fmac_f32_e32 v187, 0xbf2c7751, v89
	v_add_f32_e32 v105, v204, v105
	v_mov_b32_e32 v204, v113
	v_add_f32_e32 v8, v10, v8
	v_add_f32_e32 v10, v45, v187
	v_fmac_f32_e32 v188, 0xbf7ee86f, v90
	v_fmac_f32_e32 v204, 0x3f763a35, v96
	v_mul_f32_e32 v115, 0xbf1a4643, v115
	v_add_f32_e32 v10, v188, v10
	v_fmac_f32_e32 v189, 0xbf4c4adb, v92
	v_add_f32_e32 v105, v204, v105
	v_mov_b32_e32 v204, v115
	v_add_f32_e32 v10, v189, v10
	v_fmac_f32_e32 v190, 0xbe3c28d5, v94
	v_fmac_f32_e32 v204, 0x3f4c4adb, v98
	v_mul_f32_e32 v117, 0xbf59a7d5, v117
	v_add_f32_e32 v10, v190, v10
	v_fmac_f32_e32 v191, 0x3f06c442, v96
	v_add_f32_e32 v105, v204, v105
	v_mov_b32_e32 v204, v117
	;; [unrolled: 8-line block ×3, first 2 shown]
	v_add_f32_e32 v10, v193, v10
	v_fmac_f32_e32 v194, 0x3eb8f4ab, v102
	v_fmac_f32_e32 v204, 0x3e3c28d5, v102
	v_mul_f32_e32 v103, 0xbeb8f4ab, v103
	v_add_f32_e32 v11, v194, v10
	v_fma_f32 v10, v87, s18, -v195
	v_add_f32_e32 v105, v204, v105
	v_mov_b32_e32 v204, v103
	v_mul_f32_e32 v205, 0xbf2c7751, v104
	v_add_f32_e32 v10, v44, v10
	v_fma_f32 v46, v88, s16, -v196
	v_fmac_f32_e32 v204, 0x3f6eb680, v87
	v_mov_b32_e32 v104, v205
	v_add_f32_e32 v10, v46, v10
	v_fma_f32 v46, v91, s17, -v197
	v_add_f32_e32 v204, v44, v204
	v_fmac_f32_e32 v104, 0x3f3d2fb0, v88
	v_mul_f32_e32 v106, 0xbf65296c, v106
	v_add_f32_e32 v10, v46, v10
	v_fma_f32 v46, v93, s9, -v198
	v_add_f32_e32 v104, v104, v204
	v_mov_b32_e32 v204, v106
	v_add_f32_e32 v10, v46, v10
	v_fma_f32 v46, v95, s8, -v199
	v_fmac_f32_e32 v204, 0x3ee437d1, v91
	v_mul_f32_e32 v108, 0xbf7ee86f, v108
	v_add_f32_e32 v10, v46, v10
	v_fma_f32 v46, v97, s19, -v200
	v_add_f32_e32 v104, v204, v104
	v_mov_b32_e32 v204, v108
	v_add_f32_e32 v10, v46, v10
	v_fma_f32 v46, v99, s10, -v201
	;; [unrolled: 8-line block ×3, first 2 shown]
	v_fmac_f32_e32 v204, 0xbe8c1d8e, v95
	v_mul_f32_e32 v112, 0xbf4c4adb, v112
	v_fmac_f32_e32 v203, 0xbeb8f4ab, v89
	v_add_f32_e32 v44, v44, v46
	v_fma_f32 v46, v88, s18, -v205
	v_add_f32_e32 v104, v204, v104
	v_mov_b32_e32 v204, v112
	v_add_f32_e32 v45, v45, v203
	v_fmac_f32_e32 v107, 0xbf2c7751, v90
	v_add_f32_e32 v44, v46, v44
	v_fma_f32 v46, v91, s10, -v106
	v_fmac_f32_e32 v204, 0xbf1a4643, v97
	v_mul_f32_e32 v114, 0xbf06c442, v114
	v_add_f32_e32 v45, v107, v45
	v_fmac_f32_e32 v109, 0xbf65296c, v92
	v_add_f32_e32 v44, v46, v44
	v_fma_f32 v46, v93, s16, -v108
	v_add_f32_e32 v104, v204, v104
	v_mov_b32_e32 v204, v114
	v_add_f32_e32 v45, v109, v45
	v_fmac_f32_e32 v111, 0xbf7ee86f, v94
	v_add_f32_e32 v44, v46, v44
	v_fma_f32 v46, v95, s19, -v110
	v_fmac_f32_e32 v204, 0xbf59a7d5, v99
	v_mul_f32_e32 v116, 0xbe3c28d5, v116
	v_add_f32_e32 v45, v111, v45
	v_fmac_f32_e32 v113, 0xbf763a35, v96
	v_add_f32_e32 v44, v46, v44
	v_fma_f32 v46, v97, s17, -v112
	v_add_f32_e32 v104, v204, v104
	v_mov_b32_e32 v204, v116
	v_add_f32_e32 v45, v113, v45
	v_fmac_f32_e32 v115, 0xbf4c4adb, v98
	v_add_f32_e32 v44, v46, v44
	v_fma_f32 v46, v99, s8, -v114
	v_fmac_f32_e32 v204, 0xbf7ba420, v101
	v_add_f32_e32 v45, v115, v45
	v_fmac_f32_e32 v117, 0xbf06c442, v100
	v_add_f32_e32 v44, v46, v44
	v_fma_f32 v46, v101, s9, -v116
	v_add_f32_e32 v104, v204, v104
	v_add_f32_e32 v1, v70, v1
	;; [unrolled: 1-line block ×4, first 2 shown]
	v_fmac_f32_e32 v118, 0xbe3c28d5, v102
	v_add_f32_e32 v44, v46, v44
	v_lshlrev_b32_e32 v46, 3, v85
	v_add_f32_e32 v45, v118, v45
	ds_write2_b64 v46, v[0:1], v[104:105] offset1:1
	ds_write2_b64 v46, v[121:122], v[119:120] offset0:2 offset1:3
	ds_write2_b64 v46, v[81:82], v[79:80] offset0:4 offset1:5
	;; [unrolled: 1-line block ×7, first 2 shown]
	ds_write_b64 v46, v[44:45] offset:128
.LBB0_17:
	s_or_b64 exec, exec, s[2:3]
	s_waitcnt lgkmcnt(0)
	s_barrier
	ds_read2_b64 v[0:3], v84 offset1:187
	v_add_u32_e32 v4, 0xa00, v84
	ds_read2_b64 v[4:7], v4 offset0:54 offset1:241
	v_add_u32_e32 v8, 0x1600, v84
	ds_read2_b64 v[8:11], v8 offset0:44 offset1:231
	s_waitcnt lgkmcnt(2)
	v_mul_f32_e32 v48, v25, v3
	v_fmac_f32_e32 v48, v24, v2
	v_mul_f32_e32 v2, v25, v2
	v_fma_f32 v2, v24, v3, -v2
	s_waitcnt lgkmcnt(1)
	v_mul_f32_e32 v3, v27, v5
	v_add_u32_e32 v44, 0x2200, v84
	v_fmac_f32_e32 v3, v26, v4
	v_mul_f32_e32 v4, v27, v4
	ds_read2_b64 v[44:47], v44 offset0:34 offset1:221
	v_fma_f32 v4, v26, v5, -v4
	v_mul_f32_e32 v5, v17, v7
	v_fmac_f32_e32 v5, v16, v6
	v_mul_f32_e32 v6, v17, v6
	v_fma_f32 v6, v16, v7, -v6
	s_waitcnt lgkmcnt(1)
	v_mul_f32_e32 v7, v19, v9
	v_fmac_f32_e32 v7, v18, v8
	v_mul_f32_e32 v8, v19, v8
	v_fma_f32 v8, v18, v9, -v8
	v_mul_f32_e32 v9, v13, v11
	v_fmac_f32_e32 v9, v12, v10
	v_mul_f32_e32 v10, v13, v10
	s_waitcnt lgkmcnt(0)
	v_mul_f32_e32 v13, v72, v47
	v_fma_f32 v10, v12, v11, -v10
	v_mul_f32_e32 v11, v15, v45
	v_mul_f32_e32 v12, v15, v44
	v_fmac_f32_e32 v13, v71, v46
	v_fmac_f32_e32 v11, v14, v44
	v_fma_f32 v12, v14, v45, -v12
	v_mul_f32_e32 v14, v72, v46
	v_sub_f32_e32 v9, v48, v9
	v_sub_f32_e32 v13, v5, v13
	v_fma_f32 v14, v71, v47, -v14
	v_sub_f32_e32 v7, v0, v7
	v_sub_f32_e32 v8, v1, v8
	;; [unrolled: 1-line block ×4, first 2 shown]
	v_fma_f32 v15, v48, 2.0, -v9
	v_fma_f32 v5, v5, 2.0, -v13
	;; [unrolled: 1-line block ×6, first 2 shown]
	v_sub_f32_e32 v10, v2, v10
	v_sub_f32_e32 v14, v6, v14
	v_add_f32_e32 v18, v7, v12
	v_sub_f32_e32 v19, v8, v11
	v_sub_f32_e32 v11, v15, v5
	v_fma_f32 v2, v2, 2.0, -v10
	v_fma_f32 v6, v6, 2.0, -v14
	v_sub_f32_e32 v16, v0, v3
	v_sub_f32_e32 v17, v1, v4
	v_fma_f32 v3, v7, 2.0, -v18
	v_fma_f32 v8, v8, 2.0, -v19
	;; [unrolled: 1-line block ×3, first 2 shown]
	v_add_f32_e32 v14, v9, v14
	v_sub_f32_e32 v15, v10, v13
	v_sub_f32_e32 v12, v2, v6
	v_fma_f32 v9, v9, 2.0, -v14
	v_fma_f32 v10, v10, 2.0, -v15
	v_mov_b32_e32 v6, v3
	v_mov_b32_e32 v7, v8
	v_fmac_f32_e32 v6, 0xbf3504f3, v9
	v_fmac_f32_e32 v7, 0xbf3504f3, v10
	;; [unrolled: 1-line block ×4, first 2 shown]
	v_sub_f32_e32 v9, v17, v11
	v_mov_b32_e32 v10, v18
	v_mov_b32_e32 v11, v19
	v_fma_f32 v0, v0, 2.0, -v16
	v_fma_f32 v1, v1, 2.0, -v17
	;; [unrolled: 1-line block ×3, first 2 shown]
	v_fmac_f32_e32 v10, 0x3f3504f3, v14
	v_fmac_f32_e32 v11, 0x3f3504f3, v15
	v_sub_f32_e32 v4, v0, v4
	v_sub_f32_e32 v5, v1, v2
	v_fma_f32 v2, v3, 2.0, -v6
	v_fma_f32 v3, v8, 2.0, -v7
	v_add_f32_e32 v8, v16, v12
	v_fmac_f32_e32 v10, 0x3f3504f3, v15
	v_fmac_f32_e32 v11, 0xbf3504f3, v14
	v_fma_f32 v0, v0, 2.0, -v4
	v_fma_f32 v1, v1, 2.0, -v5
	;; [unrolled: 1-line block ×6, first 2 shown]
	s_barrier
	ds_write2_b64 v86, v[0:1], v[2:3] offset1:17
	ds_write2_b64 v86, v[12:13], v[14:15] offset0:34 offset1:51
	ds_write2_b64 v86, v[4:5], v[6:7] offset0:68 offset1:85
	;; [unrolled: 1-line block ×3, first 2 shown]
	s_waitcnt lgkmcnt(0)
	s_barrier
	s_and_saveexec_b64 s[2:3], s[0:1]
	s_cbranch_execz .LBB0_19
; %bb.18:
	v_add_u32_e32 v4, 0x800, v84
	ds_read2_b64 v[12:15], v4 offset0:16 offset1:152
	v_add_u32_e32 v4, 0x1000, v84
	v_add_u32_e32 v8, 0x1800, v84
	;; [unrolled: 1-line block ×3, first 2 shown]
	ds_read2_b64 v[0:3], v84 offset1:136
	ds_read2_b64 v[4:7], v4 offset0:32 offset1:168
	ds_read2_b64 v[8:11], v8 offset0:48 offset1:184
	;; [unrolled: 1-line block ×3, first 2 shown]
	ds_read_b64 v[73:74], v84 offset:10880
.LBB0_19:
	s_or_b64 exec, exec, s[2:3]
	s_and_saveexec_b64 s[2:3], s[0:1]
	s_cbranch_execz .LBB0_21
; %bb.20:
	s_waitcnt lgkmcnt(4)
	v_mul_f32_e32 v18, v37, v3
	v_fmac_f32_e32 v18, v36, v2
	s_waitcnt lgkmcnt(0)
	v_mul_f32_e32 v24, v43, v74
	v_mul_f32_e32 v2, v37, v2
	v_fmac_f32_e32 v24, v42, v73
	v_fma_f32 v26, v36, v3, -v2
	v_mul_f32_e32 v27, v39, v13
	v_mul_f32_e32 v36, v41, v67
	v_sub_f32_e32 v25, v18, v24
	v_mul_f32_e32 v17, v43, v73
	v_fmac_f32_e32 v27, v38, v12
	v_fmac_f32_e32 v36, v40, v66
	v_mul_f32_e32 v3, v41, v66
	v_mul_f32_e32 v16, 0xbf7d64f0, v25
	v_fma_f32 v19, v42, v74, -v17
	v_sub_f32_e32 v37, v27, v36
	v_fma_f32 v40, v40, v67, -v3
	v_mul_f32_e32 v3, v39, v12
	v_add_f32_e32 v17, v19, v26
	v_mov_b32_e32 v2, v16
	v_mul_f32_e32 v42, 0x3e903f40, v37
	v_fma_f32 v38, v38, v13, -v3
	v_fmac_f32_e32 v2, 0xbe11bafb, v17
	v_add_f32_e32 v39, v40, v38
	v_mov_b32_e32 v3, v42
	v_add_f32_e32 v2, v1, v2
	v_fmac_f32_e32 v3, 0xbf75a155, v39
	v_mul_f32_e32 v41, v29, v15
	v_mul_f32_e32 v43, v35, v65
	v_add_f32_e32 v2, v3, v2
	v_fmac_f32_e32 v41, v28, v14
	v_fmac_f32_e32 v43, v34, v64
	v_mul_f32_e32 v3, v35, v64
	v_sub_f32_e32 v44, v41, v43
	v_fma_f32 v34, v34, v65, -v3
	v_mul_f32_e32 v3, v29, v14
	v_mul_f32_e32 v12, 0x3f68dda4, v44
	v_fma_f32 v28, v28, v15, -v3
	v_add_f32_e32 v29, v34, v28
	v_mov_b32_e32 v3, v12
	v_fmac_f32_e32 v3, 0x3ed4b147, v29
	v_mul_f32_e32 v35, v31, v5
	v_mul_f32_e32 v45, v33, v11
	v_add_f32_e32 v2, v3, v2
	v_fmac_f32_e32 v35, v30, v4
	v_fmac_f32_e32 v45, v32, v10
	v_mul_f32_e32 v3, v33, v10
	v_sub_f32_e32 v46, v35, v45
	v_fma_f32 v32, v32, v11, -v3
	v_mul_f32_e32 v3, v31, v4
	v_mul_f32_e32 v13, 0xbf0a6770, v46
	v_fma_f32 v30, v30, v5, -v3
	v_add_f32_e32 v31, v32, v30
	v_mov_b32_e32 v3, v13
	v_fmac_f32_e32 v3, 0x3f575c64, v31
	v_mul_f32_e32 v33, v21, v7
	v_mul_f32_e32 v47, v23, v9
	v_add_f32_e32 v2, v3, v2
	v_fmac_f32_e32 v33, v20, v6
	v_fmac_f32_e32 v47, v22, v8
	v_mul_f32_e32 v3, v23, v8
	s_mov_b32 s0, 0xbe11bafb
	v_sub_f32_e32 v48, v33, v47
	v_fma_f32 v22, v22, v9, -v3
	v_mul_f32_e32 v3, v21, v6
	s_mov_b32 s1, 0xbf75a155
	v_mul_f32_e32 v14, 0xbf4178ce, v48
	v_fma_f32 v20, v20, v7, -v3
	v_fma_f32 v16, v17, s0, -v16
	s_mov_b32 s8, 0x3ed4b147
	v_add_f32_e32 v21, v22, v20
	v_mov_b32_e32 v3, v14
	v_sub_f32_e32 v49, v26, v19
	v_add_f32_e32 v16, v1, v16
	v_fma_f32 v42, v39, s1, -v42
	s_mov_b32 s9, 0x3f575c64
	v_fmac_f32_e32 v3, 0xbf27a4f4, v21
	v_add_f32_e32 v23, v24, v18
	v_mul_f32_e32 v15, 0xbf7d64f0, v49
	v_sub_f32_e32 v51, v38, v40
	v_add_f32_e32 v16, v42, v16
	v_fma_f32 v12, v29, s8, -v12
	s_mov_b32 s10, 0xbf27a4f4
	v_add_f32_e32 v3, v3, v2
	v_fma_f32 v2, v23, s0, -v15
	v_add_f32_e32 v50, v36, v27
	v_mul_f32_e32 v52, 0x3e903f40, v51
	v_sub_f32_e32 v54, v28, v34
	v_add_f32_e32 v12, v12, v16
	v_fma_f32 v13, v31, s9, -v13
	v_add_f32_e32 v2, v0, v2
	v_fma_f32 v4, v50, s1, -v52
	v_add_f32_e32 v53, v43, v41
	v_mul_f32_e32 v55, 0x3f68dda4, v54
	v_sub_f32_e32 v57, v30, v32
	v_add_f32_e32 v12, v13, v12
	v_fma_f32 v13, v21, s10, -v14
	v_fmac_f32_e32 v15, 0xbe11bafb, v23
	v_add_f32_e32 v2, v4, v2
	v_fma_f32 v4, v53, s8, -v55
	v_add_f32_e32 v56, v45, v35
	v_mul_f32_e32 v58, 0xbf0a6770, v57
	v_sub_f32_e32 v60, v20, v22
	v_add_f32_e32 v13, v13, v12
	v_add_f32_e32 v12, v0, v15
	v_fmac_f32_e32 v52, 0xbf75a155, v50
	v_mul_f32_e32 v42, 0x3ed4b147, v17
	v_add_f32_e32 v2, v4, v2
	v_fma_f32 v4, v56, s9, -v58
	v_add_f32_e32 v59, v47, v33
	v_mul_f32_e32 v61, 0xbf4178ce, v60
	v_add_f32_e32 v12, v52, v12
	v_mov_b32_e32 v14, v42
	v_mul_f32_e32 v52, 0xbf27a4f4, v39
	v_add_f32_e32 v2, v4, v2
	v_fma_f32 v4, v59, s10, -v61
	v_mul_f32_e32 v10, 0xbf4178ce, v25
	v_fmac_f32_e32 v55, 0x3ed4b147, v53
	v_fmac_f32_e32 v14, 0x3f68dda4, v25
	v_mov_b32_e32 v15, v52
	v_add_f32_e32 v2, v4, v2
	v_mov_b32_e32 v4, v10
	v_mul_f32_e32 v11, 0x3f7d64f0, v37
	v_add_f32_e32 v12, v55, v12
	v_add_f32_e32 v14, v1, v14
	v_fmac_f32_e32 v15, 0x3f4178ce, v37
	v_mul_f32_e32 v55, 0xbf75a155, v29
	v_fmac_f32_e32 v4, 0xbf27a4f4, v17
	v_mov_b32_e32 v5, v11
	v_fmac_f32_e32 v58, 0x3f575c64, v56
	v_add_f32_e32 v14, v15, v14
	v_mov_b32_e32 v15, v55
	v_add_f32_e32 v4, v1, v4
	v_fmac_f32_e32 v5, 0xbe11bafb, v39
	v_mul_f32_e32 v62, 0xbf0a6770, v44
	v_add_f32_e32 v12, v58, v12
	v_fmac_f32_e32 v15, 0xbe903f40, v44
	v_mul_f32_e32 v58, 0xbe11bafb, v31
	v_add_f32_e32 v4, v5, v4
	v_mov_b32_e32 v5, v62
	v_fmac_f32_e32 v61, 0xbf27a4f4, v59
	v_add_f32_e32 v14, v15, v14
	v_mov_b32_e32 v15, v58
	v_fmac_f32_e32 v5, 0x3f575c64, v29
	v_mul_f32_e32 v63, 0xbe903f40, v46
	v_fma_f32 v10, v17, s10, -v10
	v_add_f32_e32 v12, v61, v12
	v_fmac_f32_e32 v15, 0xbf7d64f0, v46
	v_mul_f32_e32 v61, 0x3f575c64, v21
	v_add_f32_e32 v4, v5, v4
	v_mov_b32_e32 v5, v63
	v_add_f32_e32 v10, v1, v10
	v_fma_f32 v11, v39, s0, -v11
	v_add_f32_e32 v14, v15, v14
	v_mov_b32_e32 v15, v61
	v_fmac_f32_e32 v5, 0xbf75a155, v31
	v_mul_f32_e32 v64, 0x3f68dda4, v48
	v_add_f32_e32 v10, v11, v10
	v_fma_f32 v11, v29, s9, -v62
	v_fmac_f32_e32 v15, 0xbf0a6770, v48
	v_mul_f32_e32 v62, 0xbf68dda4, v49
	v_add_f32_e32 v4, v5, v4
	v_mov_b32_e32 v5, v64
	v_add_f32_e32 v10, v11, v10
	v_fma_f32 v11, v31, s1, -v63
	v_add_f32_e32 v15, v15, v14
	v_mov_b32_e32 v14, v62
	v_mul_f32_e32 v63, 0xbf4178ce, v51
	v_fmac_f32_e32 v5, 0x3ed4b147, v21
	v_mul_f32_e32 v65, 0xbf4178ce, v49
	v_fmac_f32_e32 v14, 0x3ed4b147, v23
	v_mov_b32_e32 v16, v63
	v_add_f32_e32 v5, v5, v4
	v_fma_f32 v4, v23, s10, -v65
	v_mul_f32_e32 v66, 0x3f7d64f0, v51
	v_add_f32_e32 v10, v11, v10
	v_fma_f32 v11, v21, s8, -v64
	v_add_f32_e32 v14, v0, v14
	v_fmac_f32_e32 v16, 0xbf27a4f4, v50
	v_mul_f32_e32 v64, 0x3e903f40, v54
	v_add_f32_e32 v4, v0, v4
	v_fma_f32 v6, v50, s0, -v66
	v_mul_f32_e32 v67, 0xbf0a6770, v54
	v_fmac_f32_e32 v65, 0xbf27a4f4, v23
	v_add_f32_e32 v14, v16, v14
	v_mov_b32_e32 v16, v64
	v_add_f32_e32 v4, v6, v4
	v_fma_f32 v6, v53, s9, -v67
	v_mul_f32_e32 v69, 0xbe903f40, v57
	v_add_f32_e32 v11, v11, v10
	v_add_f32_e32 v10, v0, v65
	v_fmac_f32_e32 v16, 0xbf75a155, v53
	v_mul_f32_e32 v65, 0x3f7d64f0, v57
	v_add_f32_e32 v4, v6, v4
	v_fma_f32 v6, v56, s1, -v69
	v_mul_f32_e32 v70, 0x3f68dda4, v60
	v_fmac_f32_e32 v66, 0xbe11bafb, v50
	v_add_f32_e32 v14, v16, v14
	v_mov_b32_e32 v16, v65
	v_add_f32_e32 v4, v6, v4
	v_fma_f32 v6, v59, s8, -v70
	v_mul_f32_e32 v8, 0xbe903f40, v25
	v_add_f32_e32 v10, v66, v10
	v_fmac_f32_e32 v16, 0xbe11bafb, v56
	v_mul_f32_e32 v66, 0x3f0a6770, v60
	v_add_f32_e32 v4, v6, v4
	v_mov_b32_e32 v6, v8
	v_mul_f32_e32 v9, 0x3f0a6770, v37
	v_fmac_f32_e32 v67, 0x3f575c64, v53
	v_add_f32_e32 v14, v16, v14
	v_mov_b32_e32 v16, v66
	v_fmac_f32_e32 v6, 0xbf75a155, v17
	v_mov_b32_e32 v7, v9
	v_add_f32_e32 v10, v67, v10
	v_fmac_f32_e32 v16, 0x3f575c64, v59
	v_mul_f32_e32 v67, 0x3f575c64, v17
	v_add_f32_e32 v6, v1, v6
	v_fmac_f32_e32 v7, 0x3f575c64, v39
	v_mul_f32_e32 v71, 0xbf4178ce, v44
	v_fma_f32 v8, v17, s1, -v8
	v_fma_f32 v9, v39, s9, -v9
	v_add_f32_e32 v14, v16, v14
	v_mov_b32_e32 v16, v67
	v_mul_f32_e32 v39, 0x3ed4b147, v39
	v_add_f32_e32 v6, v7, v6
	v_mov_b32_e32 v7, v71
	v_add_f32_e32 v8, v1, v8
	v_fmac_f32_e32 v16, 0x3f0a6770, v25
	v_mov_b32_e32 v17, v39
	v_fmac_f32_e32 v7, 0xbf27a4f4, v29
	v_mul_f32_e32 v72, 0x3f68dda4, v46
	v_add_f32_e32 v8, v9, v8
	v_fma_f32 v9, v29, s10, -v71
	v_add_f32_e32 v16, v1, v16
	v_fmac_f32_e32 v17, 0x3f68dda4, v37
	v_mul_f32_e32 v29, 0xbe11bafb, v29
	v_add_f32_e32 v6, v7, v6
	v_mov_b32_e32 v7, v72
	v_add_f32_e32 v16, v17, v16
	v_mov_b32_e32 v17, v29
	v_fmac_f32_e32 v7, 0x3ed4b147, v31
	v_add_f32_e32 v8, v9, v8
	v_fma_f32 v9, v31, s8, -v72
	v_fmac_f32_e32 v17, 0x3f7d64f0, v44
	v_mul_f32_e32 v31, 0xbf27a4f4, v31
	v_fmac_f32_e32 v69, 0xbf75a155, v56
	v_add_f32_e32 v16, v17, v16
	v_mov_b32_e32 v17, v31
	v_mul_f32_e32 v73, 0xbf7d64f0, v48
	v_add_f32_e32 v10, v69, v10
	v_fmac_f32_e32 v17, 0x3f4178ce, v46
	v_mul_f32_e32 v69, 0xbf75a155, v21
	v_add_f32_e32 v6, v7, v6
	v_mov_b32_e32 v7, v73
	v_add_f32_e32 v16, v17, v16
	v_mov_b32_e32 v17, v69
	v_fmac_f32_e32 v7, 0xbe11bafb, v21
	v_mul_f32_e32 v74, 0xbe903f40, v49
	v_fmac_f32_e32 v17, 0x3e903f40, v48
	v_mul_f32_e32 v49, 0xbf0a6770, v49
	v_add_f32_e32 v7, v7, v6
	v_fma_f32 v6, v23, s1, -v74
	v_mul_f32_e32 v75, 0x3f0a6770, v51
	v_add_f32_e32 v17, v17, v16
	v_mov_b32_e32 v16, v49
	v_mul_f32_e32 v51, 0xbf68dda4, v51
	v_add_f32_e32 v6, v0, v6
	v_fma_f32 v76, v50, s9, -v75
	v_add_f32_e32 v8, v9, v8
	v_fma_f32 v9, v21, s0, -v73
	v_fmac_f32_e32 v16, 0x3f575c64, v23
	v_mov_b32_e32 v21, v51
	v_add_f32_e32 v6, v76, v6
	v_mul_f32_e32 v76, 0xbf4178ce, v54
	v_add_f32_e32 v16, v0, v16
	v_fmac_f32_e32 v21, 0x3ed4b147, v50
	v_mul_f32_e32 v54, 0xbf7d64f0, v54
	v_fma_f32 v77, v53, s10, -v76
	v_add_f32_e32 v16, v21, v16
	v_mov_b32_e32 v21, v54
	v_add_f32_e32 v6, v77, v6
	v_mul_f32_e32 v77, 0x3f68dda4, v57
	v_fmac_f32_e32 v21, 0xbe11bafb, v53
	v_mul_f32_e32 v57, 0xbf4178ce, v57
	v_fma_f32 v78, v56, s8, -v77
	v_add_f32_e32 v16, v21, v16
	v_mov_b32_e32 v21, v57
	v_add_f32_e32 v6, v78, v6
	v_mul_f32_e32 v78, 0xbf7d64f0, v60
	v_fmac_f32_e32 v21, 0xbf27a4f4, v56
	v_mul_f32_e32 v60, 0xbe903f40, v60
	v_add_f32_e32 v16, v21, v16
	v_mov_b32_e32 v21, v60
	v_fmac_f32_e32 v21, 0xbf75a155, v59
	v_add_f32_e32 v16, v21, v16
	v_add_f32_e32 v21, v26, v1
	v_add_f32_e32 v21, v38, v21
	v_add_f32_e32 v21, v28, v21
	v_add_f32_e32 v21, v30, v21
	v_add_f32_e32 v20, v20, v21
	v_add_f32_e32 v20, v22, v20
	v_add_f32_e32 v20, v32, v20
	v_add_f32_e32 v20, v34, v20
	v_add_f32_e32 v20, v40, v20
	v_fmac_f32_e32 v42, 0xbf68dda4, v25
	v_add_f32_e32 v19, v19, v20
	v_add_f32_e32 v18, v0, v18
	;; [unrolled: 1-line block ×3, first 2 shown]
	v_fmac_f32_e32 v52, 0xbf4178ce, v37
	v_add_f32_e32 v18, v27, v18
	v_add_f32_e32 v20, v52, v20
	v_fmac_f32_e32 v55, 0x3e903f40, v44
	v_add_f32_e32 v18, v41, v18
	v_add_f32_e32 v20, v55, v20
	;; [unrolled: 3-line block ×4, first 2 shown]
	v_fma_f32 v20, v23, s8, -v62
	v_add_f32_e32 v18, v47, v18
	v_add_f32_e32 v20, v0, v20
	v_fma_f32 v22, v50, s10, -v63
	v_fmac_f32_e32 v74, 0xbf75a155, v23
	v_add_f32_e32 v18, v45, v18
	v_add_f32_e32 v20, v22, v20
	v_fma_f32 v22, v53, s1, -v64
	v_add_f32_e32 v9, v9, v8
	v_add_f32_e32 v8, v0, v74
	v_fmac_f32_e32 v75, 0x3f575c64, v50
	v_add_f32_e32 v18, v43, v18
	v_add_f32_e32 v20, v22, v20
	v_fma_f32 v22, v56, s0, -v65
	v_add_f32_e32 v8, v75, v8
	v_fmac_f32_e32 v76, 0xbf27a4f4, v53
	v_add_f32_e32 v18, v36, v18
	v_add_f32_e32 v20, v22, v20
	v_fma_f32 v22, v59, s9, -v66
	v_add_f32_e32 v8, v76, v8
	v_fmac_f32_e32 v77, 0x3ed4b147, v56
	v_add_f32_e32 v18, v24, v18
	v_add_f32_e32 v20, v22, v20
	v_fmac_f32_e32 v67, 0xbf0a6770, v25
	v_fma_f32 v22, v23, s9, -v49
	v_fma_f32 v79, v59, s0, -v78
	v_add_f32_e32 v8, v77, v8
	v_fmac_f32_e32 v78, 0xbe11bafb, v59
	v_fmac_f32_e32 v70, 0x3ed4b147, v59
	v_add_f32_e32 v1, v1, v67
	v_fmac_f32_e32 v39, 0xbf68dda4, v37
	v_add_f32_e32 v0, v0, v22
	v_fma_f32 v22, v50, s8, -v51
	ds_write2_b64 v84, v[18:19], v[16:17] offset1:136
	v_add_u32_e32 v16, 0x800, v84
	v_add_f32_e32 v8, v78, v8
	v_add_f32_e32 v10, v70, v10
	;; [unrolled: 1-line block ×3, first 2 shown]
	v_fmac_f32_e32 v29, 0xbf7d64f0, v44
	v_add_f32_e32 v0, v22, v0
	v_fma_f32 v22, v53, s0, -v54
	ds_write2_b64 v16, v[14:15], v[12:13] offset0:16 offset1:152
	v_add_u32_e32 v12, 0x1000, v84
	v_add_f32_e32 v6, v79, v6
	v_add_f32_e32 v1, v29, v1
	v_fmac_f32_e32 v31, 0xbf4178ce, v46
	v_add_f32_e32 v0, v22, v0
	v_fma_f32 v22, v56, s10, -v57
	ds_write2_b64 v12, v[10:11], v[8:9] offset0:32 offset1:168
	v_add_u32_e32 v8, 0x1800, v84
	v_add_f32_e32 v1, v31, v1
	v_fmac_f32_e32 v69, 0xbe903f40, v48
	v_add_f32_e32 v0, v22, v0
	v_fma_f32 v22, v59, s1, -v60
	ds_write2_b64 v8, v[6:7], v[4:5] offset0:48 offset1:184
	v_add_u32_e32 v4, 0x2000, v84
	v_add_f32_e32 v1, v69, v1
	v_add_f32_e32 v0, v22, v0
	ds_write2_b64 v4, v[2:3], v[20:21] offset0:64 offset1:200
	ds_write_b64 v84, v[0:1] offset:10880
.LBB0_21:
	s_or_b64 exec, exec, s[2:3]
	s_waitcnt lgkmcnt(0)
	s_barrier
	s_and_b64 exec, exec, vcc
	s_cbranch_execz .LBB0_23
; %bb.22:
	global_load_dwordx2 v[0:1], v84, s[12:13]
	ds_read_b64 v[2:3], v84
	v_mad_u64_u32 v[4:5], s[0:1], s6, v68, 0
	v_mad_u64_u32 v[6:7], s[0:1], s4, v83, 0
	s_mov_b32 s0, 0xb8d015e7
	s_mov_b32 s1, 0x3f45e75b
	v_mad_u64_u32 v[8:9], s[2:3], s7, v68, v[5:6]
	v_mov_b32_e32 v11, s15
	s_mul_hi_u32 s6, s4, 0x2c0
	v_mad_u64_u32 v[9:10], s[2:3], s5, v83, v[7:8]
	s_mul_i32 s3, s5, 0x2c0
	s_mul_i32 s2, s4, 0x2c0
	v_mov_b32_e32 v7, v9
	v_lshlrev_b64 v[6:7], 3, v[6:7]
	s_add_i32 s3, s6, s3
	s_movk_i32 s6, 0x1000
	v_mov_b32_e32 v14, s3
	s_waitcnt vmcnt(0) lgkmcnt(0)
	v_mul_f32_e32 v5, v3, v1
	v_mul_f32_e32 v1, v2, v1
	v_fmac_f32_e32 v5, v2, v0
	v_fma_f32 v2, v0, v3, -v1
	v_cvt_f64_f32_e32 v[0:1], v5
	v_cvt_f64_f32_e32 v[2:3], v2
	v_mov_b32_e32 v5, v8
	v_lshlrev_b64 v[4:5], 3, v[4:5]
	v_mul_f64 v[0:1], v[0:1], s[0:1]
	v_mul_f64 v[2:3], v[2:3], s[0:1]
	v_add_co_u32_e32 v10, vcc, s14, v4
	v_addc_co_u32_e32 v11, vcc, v11, v5, vcc
	v_add_co_u32_e32 v4, vcc, v10, v6
	v_cvt_f32_f64_e32 v0, v[0:1]
	v_cvt_f32_f64_e32 v1, v[2:3]
	v_addc_co_u32_e32 v5, vcc, v11, v7, vcc
	global_store_dwordx2 v[4:5], v[0:1], off
	global_load_dwordx2 v[6:7], v84, s[12:13] offset:704
	ds_read2_b64 v[0:3], v84 offset0:88 offset1:176
	v_add_co_u32_e32 v4, vcc, s2, v4
	s_waitcnt vmcnt(0) lgkmcnt(0)
	v_mul_f32_e32 v8, v1, v7
	v_mul_f32_e32 v7, v0, v7
	v_fmac_f32_e32 v8, v0, v6
	v_fma_f32 v6, v6, v1, -v7
	v_cvt_f64_f32_e32 v[0:1], v8
	v_cvt_f64_f32_e32 v[6:7], v6
	v_mov_b32_e32 v8, s3
	v_addc_co_u32_e32 v5, vcc, v5, v8, vcc
	v_mul_f64 v[0:1], v[0:1], s[0:1]
	v_mul_f64 v[6:7], v[6:7], s[0:1]
	v_cvt_f32_f64_e32 v0, v[0:1]
	v_cvt_f32_f64_e32 v1, v[6:7]
	global_store_dwordx2 v[4:5], v[0:1], off
	global_load_dwordx2 v[0:1], v84, s[12:13] offset:1408
	v_add_co_u32_e32 v4, vcc, s2, v4
	s_waitcnt vmcnt(0)
	v_mul_f32_e32 v6, v3, v1
	v_mul_f32_e32 v1, v2, v1
	v_fmac_f32_e32 v6, v2, v0
	v_fma_f32 v2, v0, v3, -v1
	v_cvt_f64_f32_e32 v[0:1], v6
	v_cvt_f64_f32_e32 v[2:3], v2
	v_mov_b32_e32 v6, s3
	v_addc_co_u32_e32 v5, vcc, v5, v6, vcc
	v_mul_f64 v[0:1], v[0:1], s[0:1]
	v_mul_f64 v[2:3], v[2:3], s[0:1]
	v_cvt_f32_f64_e32 v0, v[0:1]
	v_cvt_f32_f64_e32 v1, v[2:3]
	global_store_dwordx2 v[4:5], v[0:1], off
	global_load_dwordx2 v[6:7], v84, s[12:13] offset:2112
	v_add_u32_e32 v0, 0x800, v84
	ds_read2_b64 v[0:3], v0 offset0:8 offset1:96
	v_add_co_u32_e32 v4, vcc, s2, v4
	s_waitcnt vmcnt(0) lgkmcnt(0)
	v_mul_f32_e32 v8, v1, v7
	v_mul_f32_e32 v7, v0, v7
	v_fmac_f32_e32 v8, v0, v6
	v_fma_f32 v6, v6, v1, -v7
	v_cvt_f64_f32_e32 v[0:1], v8
	v_cvt_f64_f32_e32 v[6:7], v6
	v_mov_b32_e32 v8, s3
	v_addc_co_u32_e32 v5, vcc, v5, v8, vcc
	v_mul_f64 v[0:1], v[0:1], s[0:1]
	v_mul_f64 v[6:7], v[6:7], s[0:1]
	v_cvt_f32_f64_e32 v0, v[0:1]
	v_cvt_f32_f64_e32 v1, v[6:7]
	global_store_dwordx2 v[4:5], v[0:1], off
	global_load_dwordx2 v[0:1], v84, s[12:13] offset:2816
	v_add_co_u32_e32 v4, vcc, s2, v4
	s_waitcnt vmcnt(0)
	v_mul_f32_e32 v6, v3, v1
	v_mul_f32_e32 v1, v2, v1
	v_fmac_f32_e32 v6, v2, v0
	v_fma_f32 v2, v0, v3, -v1
	v_cvt_f64_f32_e32 v[0:1], v6
	v_cvt_f64_f32_e32 v[2:3], v2
	v_mov_b32_e32 v6, s3
	v_addc_co_u32_e32 v5, vcc, v5, v6, vcc
	v_mul_f64 v[0:1], v[0:1], s[0:1]
	v_mul_f64 v[2:3], v[2:3], s[0:1]
	v_add_co_u32_e32 v12, vcc, s12, v84
	v_cvt_f32_f64_e32 v0, v[0:1]
	v_cvt_f32_f64_e32 v1, v[2:3]
	global_store_dwordx2 v[4:5], v[0:1], off
	global_load_dwordx2 v[6:7], v84, s[12:13] offset:3520
	v_add_u32_e32 v0, 0xc00, v84
	ds_read2_b64 v[0:3], v0 offset0:56 offset1:144
	s_waitcnt vmcnt(0) lgkmcnt(0)
	v_mul_f32_e32 v8, v1, v7
	v_mul_f32_e32 v7, v0, v7
	v_fmac_f32_e32 v8, v0, v6
	v_fma_f32 v6, v6, v1, -v7
	v_cvt_f64_f32_e32 v[0:1], v8
	v_cvt_f64_f32_e32 v[6:7], v6
	v_mov_b32_e32 v8, s13
	v_addc_co_u32_e32 v13, vcc, 0, v8, vcc
	v_mul_f64 v[0:1], v[0:1], s[0:1]
	v_mul_f64 v[6:7], v[6:7], s[0:1]
	v_add_co_u32_e32 v8, vcc, s6, v12
	v_addc_co_u32_e32 v9, vcc, 0, v13, vcc
	v_add_co_u32_e32 v4, vcc, s2, v4
	v_cvt_f32_f64_e32 v0, v[0:1]
	v_cvt_f32_f64_e32 v1, v[6:7]
	v_addc_co_u32_e32 v5, vcc, v5, v14, vcc
	s_movk_i32 s6, 0x2000
	global_store_dwordx2 v[4:5], v[0:1], off
	global_load_dwordx2 v[0:1], v[8:9], off offset:128
	v_add_co_u32_e32 v4, vcc, s2, v4
	s_waitcnt vmcnt(0)
	v_mul_f32_e32 v6, v3, v1
	v_mul_f32_e32 v1, v2, v1
	v_fmac_f32_e32 v6, v2, v0
	v_fma_f32 v2, v0, v3, -v1
	v_cvt_f64_f32_e32 v[0:1], v6
	v_cvt_f64_f32_e32 v[2:3], v2
	v_mov_b32_e32 v6, s3
	v_addc_co_u32_e32 v5, vcc, v5, v6, vcc
	v_mul_f64 v[0:1], v[0:1], s[0:1]
	v_mul_f64 v[2:3], v[2:3], s[0:1]
	v_cvt_f32_f64_e32 v0, v[0:1]
	v_cvt_f32_f64_e32 v1, v[2:3]
	global_store_dwordx2 v[4:5], v[0:1], off
	global_load_dwordx2 v[6:7], v[8:9], off offset:832
	v_add_u32_e32 v0, 0x1000, v84
	ds_read2_b64 v[0:3], v0 offset0:104 offset1:192
	v_add_co_u32_e32 v4, vcc, s2, v4
	s_waitcnt vmcnt(0) lgkmcnt(0)
	v_mul_f32_e32 v14, v1, v7
	v_mul_f32_e32 v7, v0, v7
	v_fmac_f32_e32 v14, v0, v6
	v_fma_f32 v6, v6, v1, -v7
	v_cvt_f64_f32_e32 v[0:1], v14
	v_cvt_f64_f32_e32 v[6:7], v6
	v_mov_b32_e32 v14, s3
	v_addc_co_u32_e32 v5, vcc, v5, v14, vcc
	v_mul_f64 v[0:1], v[0:1], s[0:1]
	v_mul_f64 v[6:7], v[6:7], s[0:1]
	v_cvt_f32_f64_e32 v0, v[0:1]
	v_cvt_f32_f64_e32 v1, v[6:7]
	global_store_dwordx2 v[4:5], v[0:1], off
	global_load_dwordx2 v[0:1], v[8:9], off offset:1536
	v_add_co_u32_e32 v4, vcc, s2, v4
	s_waitcnt vmcnt(0)
	v_mul_f32_e32 v6, v3, v1
	v_mul_f32_e32 v1, v2, v1
	v_fmac_f32_e32 v6, v2, v0
	v_fma_f32 v2, v0, v3, -v1
	v_cvt_f64_f32_e32 v[0:1], v6
	v_cvt_f64_f32_e32 v[2:3], v2
	v_mov_b32_e32 v6, s3
	v_addc_co_u32_e32 v5, vcc, v5, v6, vcc
	v_mul_f64 v[0:1], v[0:1], s[0:1]
	v_mul_f64 v[2:3], v[2:3], s[0:1]
	v_cvt_f32_f64_e32 v0, v[0:1]
	v_cvt_f32_f64_e32 v1, v[2:3]
	global_store_dwordx2 v[4:5], v[0:1], off
	global_load_dwordx2 v[6:7], v[8:9], off offset:2240
	v_add_u32_e32 v0, 0x1800, v84
	ds_read2_b64 v[0:3], v0 offset0:24 offset1:112
	v_add_co_u32_e32 v4, vcc, s2, v4
	s_waitcnt vmcnt(0) lgkmcnt(0)
	v_mul_f32_e32 v14, v1, v7
	v_mul_f32_e32 v7, v0, v7
	v_fmac_f32_e32 v14, v0, v6
	v_fma_f32 v6, v6, v1, -v7
	v_cvt_f64_f32_e32 v[0:1], v14
	v_cvt_f64_f32_e32 v[6:7], v6
	v_mov_b32_e32 v14, s3
	v_addc_co_u32_e32 v5, vcc, v5, v14, vcc
	v_mul_f64 v[0:1], v[0:1], s[0:1]
	v_mul_f64 v[6:7], v[6:7], s[0:1]
	v_cvt_f32_f64_e32 v0, v[0:1]
	v_cvt_f32_f64_e32 v1, v[6:7]
	global_store_dwordx2 v[4:5], v[0:1], off
	global_load_dwordx2 v[0:1], v[8:9], off offset:2944
	v_add_co_u32_e32 v4, vcc, s2, v4
	s_waitcnt vmcnt(0)
	v_mul_f32_e32 v6, v3, v1
	v_mul_f32_e32 v1, v2, v1
	v_fmac_f32_e32 v6, v2, v0
	v_fma_f32 v2, v0, v3, -v1
	v_cvt_f64_f32_e32 v[0:1], v6
	v_cvt_f64_f32_e32 v[2:3], v2
	v_mov_b32_e32 v6, s3
	v_addc_co_u32_e32 v5, vcc, v5, v6, vcc
	v_mul_f64 v[0:1], v[0:1], s[0:1]
	v_mul_f64 v[2:3], v[2:3], s[0:1]
	v_cvt_f32_f64_e32 v0, v[0:1]
	v_cvt_f32_f64_e32 v1, v[2:3]
	global_store_dwordx2 v[4:5], v[0:1], off
	global_load_dwordx2 v[6:7], v[8:9], off offset:3648
	v_add_u32_e32 v0, 0x1c00, v84
	ds_read2_b64 v[0:3], v0 offset0:72 offset1:160
	s_waitcnt vmcnt(0) lgkmcnt(0)
	v_mul_f32_e32 v8, v1, v7
	v_mul_f32_e32 v7, v0, v7
	v_fmac_f32_e32 v8, v0, v6
	v_fma_f32 v6, v6, v1, -v7
	v_cvt_f64_f32_e32 v[0:1], v8
	v_cvt_f64_f32_e32 v[6:7], v6
	v_add_co_u32_e32 v8, vcc, s6, v12
	v_mul_f64 v[0:1], v[0:1], s[0:1]
	v_mul_f64 v[6:7], v[6:7], s[0:1]
	v_addc_co_u32_e32 v9, vcc, 0, v13, vcc
	v_add_co_u32_e32 v4, vcc, s2, v4
	v_addc_co_u32_e32 v5, vcc, v5, v14, vcc
	v_cvt_f32_f64_e32 v0, v[0:1]
	v_cvt_f32_f64_e32 v1, v[6:7]
	global_store_dwordx2 v[4:5], v[0:1], off
	global_load_dwordx2 v[0:1], v[8:9], off offset:256
	v_add_co_u32_e32 v4, vcc, s2, v4
	s_waitcnt vmcnt(0)
	v_mul_f32_e32 v6, v3, v1
	v_mul_f32_e32 v1, v2, v1
	v_fmac_f32_e32 v6, v2, v0
	v_fma_f32 v2, v0, v3, -v1
	v_cvt_f64_f32_e32 v[0:1], v6
	v_cvt_f64_f32_e32 v[2:3], v2
	v_mov_b32_e32 v6, s3
	v_addc_co_u32_e32 v5, vcc, v5, v6, vcc
	v_mul_f64 v[0:1], v[0:1], s[0:1]
	v_mul_f64 v[2:3], v[2:3], s[0:1]
	v_cvt_f32_f64_e32 v0, v[0:1]
	v_cvt_f32_f64_e32 v1, v[2:3]
	global_store_dwordx2 v[4:5], v[0:1], off
	global_load_dwordx2 v[6:7], v[8:9], off offset:960
	v_add_u32_e32 v0, 0x2000, v84
	ds_read2_b64 v[0:3], v0 offset0:120 offset1:208
	v_add_co_u32_e32 v4, vcc, s2, v4
	s_waitcnt vmcnt(0) lgkmcnt(0)
	v_mul_f32_e32 v12, v1, v7
	v_mul_f32_e32 v7, v0, v7
	v_fmac_f32_e32 v12, v0, v6
	v_fma_f32 v6, v6, v1, -v7
	v_cvt_f64_f32_e32 v[0:1], v12
	v_cvt_f64_f32_e32 v[6:7], v6
	v_mov_b32_e32 v12, s3
	v_addc_co_u32_e32 v5, vcc, v5, v12, vcc
	v_mul_f64 v[0:1], v[0:1], s[0:1]
	v_mul_f64 v[6:7], v[6:7], s[0:1]
	v_cvt_f32_f64_e32 v0, v[0:1]
	v_cvt_f32_f64_e32 v1, v[6:7]
	global_store_dwordx2 v[4:5], v[0:1], off
	global_load_dwordx2 v[0:1], v[8:9], off offset:1664
	v_add_co_u32_e32 v4, vcc, s2, v4
	s_waitcnt vmcnt(0)
	v_mul_f32_e32 v6, v3, v1
	v_mul_f32_e32 v1, v2, v1
	v_fmac_f32_e32 v6, v2, v0
	v_fma_f32 v2, v0, v3, -v1
	v_cvt_f64_f32_e32 v[0:1], v6
	v_cvt_f64_f32_e32 v[2:3], v2
	v_mov_b32_e32 v6, s3
	v_addc_co_u32_e32 v5, vcc, v5, v6, vcc
	v_mul_f64 v[0:1], v[0:1], s[0:1]
	v_mul_f64 v[2:3], v[2:3], s[0:1]
	v_cvt_f32_f64_e32 v0, v[0:1]
	v_cvt_f32_f64_e32 v1, v[2:3]
	global_store_dwordx2 v[4:5], v[0:1], off
	global_load_dwordx2 v[6:7], v[8:9], off offset:2368
	v_add_u32_e32 v0, 0x2800, v84
	ds_read2_b64 v[0:3], v0 offset0:40 offset1:128
	v_add_co_u32_e32 v4, vcc, s2, v4
	v_addc_co_u32_e32 v5, vcc, v5, v12, vcc
	s_waitcnt vmcnt(0) lgkmcnt(0)
	v_mul_f32_e32 v8, v1, v7
	v_mul_f32_e32 v7, v0, v7
	v_fmac_f32_e32 v8, v0, v6
	v_fma_f32 v6, v6, v1, -v7
	v_cvt_f64_f32_e32 v[0:1], v8
	v_cvt_f64_f32_e32 v[6:7], v6
	v_or_b32_e32 v8, 0x580, v83
	v_lshlrev_b32_e32 v9, 3, v8
	v_mul_f64 v[0:1], v[0:1], s[0:1]
	v_mul_f64 v[6:7], v[6:7], s[0:1]
	v_cvt_f32_f64_e32 v0, v[0:1]
	v_cvt_f32_f64_e32 v1, v[6:7]
	global_store_dwordx2 v[4:5], v[0:1], off
	global_load_dwordx2 v[0:1], v9, s[12:13]
	v_mad_u64_u32 v[4:5], s[2:3], s4, v8, 0
	s_waitcnt vmcnt(0)
	v_mul_f32_e32 v6, v3, v1
	v_mul_f32_e32 v1, v2, v1
	v_fmac_f32_e32 v6, v2, v0
	v_fma_f32 v2, v0, v3, -v1
	v_cvt_f64_f32_e32 v[0:1], v6
	v_cvt_f64_f32_e32 v[2:3], v2
	v_mul_f64 v[0:1], v[0:1], s[0:1]
	v_mul_f64 v[2:3], v[2:3], s[0:1]
	v_mad_u64_u32 v[5:6], s[0:1], s5, v8, v[5:6]
	v_lshlrev_b64 v[4:5], 3, v[4:5]
	v_cvt_f32_f64_e32 v0, v[0:1]
	v_cvt_f32_f64_e32 v1, v[2:3]
	v_add_co_u32_e32 v2, vcc, v10, v4
	v_addc_co_u32_e32 v3, vcc, v11, v5, vcc
	global_store_dwordx2 v[2:3], v[0:1], off
.LBB0_23:
	s_endpgm
	.section	.rodata,"a",@progbits
	.p2align	6, 0x0
	.amdhsa_kernel bluestein_single_fwd_len1496_dim1_sp_op_CI_CI
		.amdhsa_group_segment_fixed_size 11968
		.amdhsa_private_segment_fixed_size 0
		.amdhsa_kernarg_size 104
		.amdhsa_user_sgpr_count 6
		.amdhsa_user_sgpr_private_segment_buffer 1
		.amdhsa_user_sgpr_dispatch_ptr 0
		.amdhsa_user_sgpr_queue_ptr 0
		.amdhsa_user_sgpr_kernarg_segment_ptr 1
		.amdhsa_user_sgpr_dispatch_id 0
		.amdhsa_user_sgpr_flat_scratch_init 0
		.amdhsa_user_sgpr_private_segment_size 0
		.amdhsa_uses_dynamic_stack 0
		.amdhsa_system_sgpr_private_segment_wavefront_offset 0
		.amdhsa_system_sgpr_workgroup_id_x 1
		.amdhsa_system_sgpr_workgroup_id_y 0
		.amdhsa_system_sgpr_workgroup_id_z 0
		.amdhsa_system_sgpr_workgroup_info 0
		.amdhsa_system_vgpr_workitem_id 0
		.amdhsa_next_free_vgpr 255
		.amdhsa_next_free_sgpr 20
		.amdhsa_reserve_vcc 1
		.amdhsa_reserve_flat_scratch 0
		.amdhsa_float_round_mode_32 0
		.amdhsa_float_round_mode_16_64 0
		.amdhsa_float_denorm_mode_32 3
		.amdhsa_float_denorm_mode_16_64 3
		.amdhsa_dx10_clamp 1
		.amdhsa_ieee_mode 1
		.amdhsa_fp16_overflow 0
		.amdhsa_exception_fp_ieee_invalid_op 0
		.amdhsa_exception_fp_denorm_src 0
		.amdhsa_exception_fp_ieee_div_zero 0
		.amdhsa_exception_fp_ieee_overflow 0
		.amdhsa_exception_fp_ieee_underflow 0
		.amdhsa_exception_fp_ieee_inexact 0
		.amdhsa_exception_int_div_zero 0
	.end_amdhsa_kernel
	.text
.Lfunc_end0:
	.size	bluestein_single_fwd_len1496_dim1_sp_op_CI_CI, .Lfunc_end0-bluestein_single_fwd_len1496_dim1_sp_op_CI_CI
                                        ; -- End function
	.section	.AMDGPU.csdata,"",@progbits
; Kernel info:
; codeLenInByte = 20664
; NumSgprs: 24
; NumVgprs: 255
; ScratchSize: 0
; MemoryBound: 0
; FloatMode: 240
; IeeeMode: 1
; LDSByteSize: 11968 bytes/workgroup (compile time only)
; SGPRBlocks: 2
; VGPRBlocks: 63
; NumSGPRsForWavesPerEU: 24
; NumVGPRsForWavesPerEU: 255
; Occupancy: 1
; WaveLimiterHint : 1
; COMPUTE_PGM_RSRC2:SCRATCH_EN: 0
; COMPUTE_PGM_RSRC2:USER_SGPR: 6
; COMPUTE_PGM_RSRC2:TRAP_HANDLER: 0
; COMPUTE_PGM_RSRC2:TGID_X_EN: 1
; COMPUTE_PGM_RSRC2:TGID_Y_EN: 0
; COMPUTE_PGM_RSRC2:TGID_Z_EN: 0
; COMPUTE_PGM_RSRC2:TIDIG_COMP_CNT: 0
	.type	__hip_cuid_4685b2a3fdbdc7ed,@object ; @__hip_cuid_4685b2a3fdbdc7ed
	.section	.bss,"aw",@nobits
	.globl	__hip_cuid_4685b2a3fdbdc7ed
__hip_cuid_4685b2a3fdbdc7ed:
	.byte	0                               ; 0x0
	.size	__hip_cuid_4685b2a3fdbdc7ed, 1

	.ident	"AMD clang version 19.0.0git (https://github.com/RadeonOpenCompute/llvm-project roc-6.4.0 25133 c7fe45cf4b819c5991fe208aaa96edf142730f1d)"
	.section	".note.GNU-stack","",@progbits
	.addrsig
	.addrsig_sym __hip_cuid_4685b2a3fdbdc7ed
	.amdgpu_metadata
---
amdhsa.kernels:
  - .args:
      - .actual_access:  read_only
        .address_space:  global
        .offset:         0
        .size:           8
        .value_kind:     global_buffer
      - .actual_access:  read_only
        .address_space:  global
        .offset:         8
        .size:           8
        .value_kind:     global_buffer
      - .actual_access:  read_only
        .address_space:  global
        .offset:         16
        .size:           8
        .value_kind:     global_buffer
      - .actual_access:  read_only
        .address_space:  global
        .offset:         24
        .size:           8
        .value_kind:     global_buffer
      - .actual_access:  read_only
        .address_space:  global
        .offset:         32
        .size:           8
        .value_kind:     global_buffer
      - .offset:         40
        .size:           8
        .value_kind:     by_value
      - .address_space:  global
        .offset:         48
        .size:           8
        .value_kind:     global_buffer
      - .address_space:  global
        .offset:         56
        .size:           8
        .value_kind:     global_buffer
      - .address_space:  global
        .offset:         64
        .size:           8
        .value_kind:     global_buffer
      - .address_space:  global
        .offset:         72
        .size:           8
        .value_kind:     global_buffer
      - .offset:         80
        .size:           4
        .value_kind:     by_value
      - .address_space:  global
        .offset:         88
        .size:           8
        .value_kind:     global_buffer
      - .address_space:  global
        .offset:         96
        .size:           8
        .value_kind:     global_buffer
    .group_segment_fixed_size: 11968
    .kernarg_segment_align: 8
    .kernarg_segment_size: 104
    .language:       OpenCL C
    .language_version:
      - 2
      - 0
    .max_flat_workgroup_size: 187
    .name:           bluestein_single_fwd_len1496_dim1_sp_op_CI_CI
    .private_segment_fixed_size: 0
    .sgpr_count:     24
    .sgpr_spill_count: 0
    .symbol:         bluestein_single_fwd_len1496_dim1_sp_op_CI_CI.kd
    .uniform_work_group_size: 1
    .uses_dynamic_stack: false
    .vgpr_count:     255
    .vgpr_spill_count: 0
    .wavefront_size: 64
amdhsa.target:   amdgcn-amd-amdhsa--gfx906
amdhsa.version:
  - 1
  - 2
...

	.end_amdgpu_metadata
